;; amdgpu-corpus repo=ROCm/rocFFT kind=compiled arch=gfx1100 opt=O3
	.text
	.amdgcn_target "amdgcn-amd-amdhsa--gfx1100"
	.amdhsa_code_object_version 6
	.protected	bluestein_single_back_len1683_dim1_half_op_CI_CI ; -- Begin function bluestein_single_back_len1683_dim1_half_op_CI_CI
	.globl	bluestein_single_back_len1683_dim1_half_op_CI_CI
	.p2align	8
	.type	bluestein_single_back_len1683_dim1_half_op_CI_CI,@function
bluestein_single_back_len1683_dim1_half_op_CI_CI: ; @bluestein_single_back_len1683_dim1_half_op_CI_CI
; %bb.0:
	s_load_b128 s[16:19], s[0:1], 0x28
	v_mul_u32_u24_e32 v1, 0x506, v0
	s_mov_b32 s2, exec_lo
	v_mov_b32_e32 v7, 0
	s_delay_alu instid0(VALU_DEP_2) | instskip(NEXT) | instid1(VALU_DEP_1)
	v_lshrrev_b32_e32 v1, 16, v1
	v_add_nc_u32_e32 v6, s15, v1
	s_waitcnt lgkmcnt(0)
	s_delay_alu instid0(VALU_DEP_1)
	v_cmpx_gt_u64_e64 s[16:17], v[6:7]
	s_cbranch_execz .LBB0_15
; %bb.1:
	s_load_b128 s[8:11], s[0:1], 0x18
	v_mul_lo_u16 v1, v1, 51
	v_mov_b32_e32 v4, v6
	s_waitcnt lgkmcnt(0)
	s_load_b128 s[4:7], s[8:9], 0x0
	s_load_b64 s[12:13], s[0:1], 0x0
	v_sub_nc_u16 v11, v0, v1
	s_delay_alu instid0(VALU_DEP_1) | instskip(NEXT) | instid1(VALU_DEP_1)
	v_and_b32_e32 v20, 0xffff, v11
	v_lshlrev_b32_e32 v207, 2, v20
	s_waitcnt lgkmcnt(0)
	s_clause 0x7
	global_load_b32 v138, v207, s[12:13]
	global_load_b32 v136, v207, s[12:13] offset:396
	global_load_b32 v134, v207, s[12:13] offset:792
	;; [unrolled: 1-line block ×7, first 2 shown]
	v_mad_u64_u32 v[0:1], null, s6, v6, 0
	v_mad_u64_u32 v[2:3], null, s4, v20, 0
	scratch_store_b64 off, v[4:5], off offset:44 ; 8-byte Folded Spill
	v_add_co_u32 v18, s2, s12, v207
	s_delay_alu instid0(VALU_DEP_1)
	v_add_co_ci_u32_e64 v19, null, s13, 0, s2
	s_mul_i32 s3, s5, 0x63
	v_mad_u64_u32 v[4:5], null, s7, v6, v[1:2]
	v_mov_b32_e32 v1, v3
	v_add_co_u32 v16, vcc_lo, 0x1000, v18
	v_add_co_ci_u32_e32 v17, vcc_lo, 0, v19, vcc_lo
	s_delay_alu instid0(VALU_DEP_3) | instskip(SKIP_4) | instid1(VALU_DEP_1)
	v_mad_u64_u32 v[5:6], null, s5, v20, v[1:2]
	v_dual_mov_b32 v1, v4 :: v_dual_add_nc_u32 v4, 0x800, v207
	s_mul_hi_u32 s6, s4, 0x63
	s_mul_i32 s2, s4, 0x63
	s_add_i32 s3, s6, s3
	v_lshlrev_b64 v[0:1], 2, v[0:1]
	s_delay_alu instid0(VALU_DEP_3)
	v_mov_b32_e32 v3, v5
	s_lshl_b64 s[14:15], s[2:3], 2
	s_clause 0x8
	global_load_b32 v121, v207, s[12:13] offset:3168
	global_load_b32 v120, v207, s[12:13] offset:3564
	global_load_b32 v117, v207, s[12:13] offset:3960
	global_load_b32 v116, v[16:17], off offset:260
	global_load_b32 v47, v[16:17], off offset:656
	;; [unrolled: 1-line block ×6, first 2 shown]
	v_add_nc_u32_e32 v5, 0xc00, v207
	v_lshlrev_b64 v[2:3], 2, v[2:3]
	v_add_co_u32 v9, vcc_lo, s18, v0
	v_add_co_ci_u32_e32 v10, vcc_lo, s19, v1, vcc_lo
	v_add_nc_u32_e32 v6, 0xe00, v207
	s_delay_alu instid0(VALU_DEP_3) | instskip(NEXT) | instid1(VALU_DEP_3)
	v_add_co_u32 v0, vcc_lo, v9, v2
	v_add_co_ci_u32_e32 v1, vcc_lo, v10, v3, vcc_lo
	v_add_nc_u32_e32 v7, 0x1200, v207
	s_delay_alu instid0(VALU_DEP_3) | instskip(NEXT) | instid1(VALU_DEP_3)
	v_add_co_u32 v2, vcc_lo, v0, s14
	v_add_co_ci_u32_e32 v3, vcc_lo, s15, v1, vcc_lo
	global_load_b32 v12, v[0:1], off
	v_add_nc_u32_e32 v8, 0x1400, v207
	global_load_b32 v13, v[2:3], off
	v_add_co_u32 v0, vcc_lo, v2, s14
	v_add_co_ci_u32_e32 v1, vcc_lo, s15, v3, vcc_lo
	s_delay_alu instid0(VALU_DEP_2) | instskip(NEXT) | instid1(VALU_DEP_2)
	v_add_co_u32 v2, vcc_lo, v0, s14
	v_add_co_ci_u32_e32 v3, vcc_lo, s15, v1, vcc_lo
	s_clause 0x1
	global_load_b32 v14, v[0:1], off
	global_load_b32 v15, v[2:3], off
	v_add_co_u32 v0, vcc_lo, v2, s14
	v_add_co_ci_u32_e32 v1, vcc_lo, s15, v3, vcc_lo
	s_delay_alu instid0(VALU_DEP_2) | instskip(NEXT) | instid1(VALU_DEP_2)
	v_add_co_u32 v2, vcc_lo, v0, s14
	v_add_co_ci_u32_e32 v3, vcc_lo, s15, v1, vcc_lo
	global_load_b32 v21, v[0:1], off
	global_load_b32 v22, v[2:3], off
	v_add_co_u32 v0, vcc_lo, v2, s14
	v_add_co_ci_u32_e32 v1, vcc_lo, s15, v3, vcc_lo
	s_delay_alu instid0(VALU_DEP_2) | instskip(NEXT) | instid1(VALU_DEP_2)
	v_add_co_u32 v2, vcc_lo, v0, s14
	v_add_co_ci_u32_e32 v3, vcc_lo, s15, v1, vcc_lo
	global_load_b32 v23, v[0:1], off
	v_add_co_u32 v0, vcc_lo, v2, s14
	v_add_co_ci_u32_e32 v1, vcc_lo, s15, v3, vcc_lo
	global_load_b32 v24, v[2:3], off
	global_load_b32 v25, v[0:1], off
	v_add_co_u32 v0, vcc_lo, v0, s14
	v_add_co_ci_u32_e32 v1, vcc_lo, s15, v1, vcc_lo
	s_delay_alu instid0(VALU_DEP_2) | instskip(NEXT) | instid1(VALU_DEP_2)
	v_add_co_u32 v2, vcc_lo, v0, s14
	v_add_co_ci_u32_e32 v3, vcc_lo, s15, v1, vcc_lo
	global_load_b32 v26, v[0:1], off
	;; [unrolled: 10-line block ×3, first 2 shown]
	v_add_co_u32 v0, vcc_lo, v2, s14
	v_add_co_ci_u32_e32 v1, vcc_lo, s15, v3, vcc_lo
	global_load_b32 v30, v[2:3], off
	v_add_co_u32 v2, vcc_lo, v0, s14
	v_add_co_ci_u32_e32 v3, vcc_lo, s15, v1, vcc_lo
	global_load_b32 v31, v[0:1], off
	;; [unrolled: 3-line block ×3, first 2 shown]
	global_load_b32 v33, v[0:1], off
	s_load_b64 s[6:7], s[0:1], 0x38
	s_load_b128 s[8:11], s[10:11], 0x0
	v_add_nc_u32_e32 v2, 0x200, v207
	v_add_nc_u32_e32 v3, 0x400, v207
	v_cmp_gt_u16_e32 vcc_lo, 48, v11
	v_or_b32_e32 v11, 0x600, v20
	s_clause 0x1
	scratch_store_b32 off, v20, off
	scratch_store_b32 off, v11, off offset:108
	s_waitcnt vmcnt(33)
	v_lshrrev_b32_e32 v36, 16, v138
	s_waitcnt vmcnt(32)
	v_lshrrev_b32_e32 v59, 16, v136
	;; [unrolled: 2-line block ×10, first 2 shown]
	v_lshrrev_b32_e32 v53, 16, v121
	v_lshrrev_b32_e32 v52, 16, v120
	;; [unrolled: 1-line block ×3, first 2 shown]
	s_waitcnt vmcnt(20)
	v_lshrrev_b32_e32 v48, 16, v46
	s_waitcnt vmcnt(19)
	v_lshrrev_b32_e32 v45, 16, v44
	s_waitcnt vmcnt(18)
	v_lshrrev_b32_e32 v43, 16, v42
	s_waitcnt vmcnt(17)
	v_lshrrev_b32_e32 v41, 16, v40
	s_clause 0x9
	scratch_store_b32 off, v49, off offset:40
	scratch_store_b32 off, v48, off offset:36
	;; [unrolled: 1-line block ×10, first 2 shown]
	s_waitcnt vmcnt(16)
	v_lshrrev_b32_e32 v34, 16, v12
	v_mul_f16_e32 v35, v36, v12
	s_waitcnt vmcnt(15)
	v_lshrrev_b32_e32 v37, 16, v13
	v_mul_f16_e32 v38, v59, v13
	v_mul_f16_e32 v36, v36, v34
	v_fma_f16 v34, v138, v34, -v35
	s_delay_alu instid0(VALU_DEP_2)
	v_fmac_f16_e64 v36, v138, v12
	v_mul_f16_e32 v12, v59, v37
	v_fma_f16 v37, v136, v37, -v38
	s_waitcnt vmcnt(14)
	v_lshrrev_b32_e32 v35, 16, v14
	v_mul_f16_e32 v38, v39, v14
	v_pack_b32_f16 v34, v36, v34
	v_fmac_f16_e64 v12, v136, v13
	s_waitcnt vmcnt(13)
	v_lshrrev_b32_e32 v36, 16, v15
	v_mul_f16_e32 v13, v39, v35
	v_mul_f16_e32 v39, v58, v15
	v_fma_f16 v35, v134, v35, -v38
	v_pack_b32_f16 v12, v12, v37
	s_delay_alu instid0(VALU_DEP_4)
	v_fmac_f16_e64 v13, v134, v14
	v_mul_f16_e32 v14, v58, v36
	s_waitcnt vmcnt(12)
	v_lshrrev_b32_e32 v37, 16, v21
	v_fma_f16 v36, v132, v36, -v39
	v_mul_f16_e32 v38, v57, v21
	ds_store_2addr_b32 v207, v34, v12 offset1:99
	v_pack_b32_f16 v12, v13, v35
	v_fmac_f16_e64 v14, v132, v15
	v_mul_f16_e32 v13, v57, v37
	s_waitcnt vmcnt(11)
	v_lshrrev_b32_e32 v15, 16, v22
	v_mul_f16_e32 v34, v56, v22
	v_fma_f16 v35, v129, v37, -v38
	v_pack_b32_f16 v14, v14, v36
	v_fmac_f16_e64 v13, v129, v21
	v_mul_f16_e32 v21, v56, v15
	v_fma_f16 v15, v128, v15, -v34
	s_waitcnt vmcnt(10)
	v_lshrrev_b32_e32 v34, 16, v23
	v_mul_f16_e32 v36, v55, v23
	ds_store_2addr_b32 v2, v12, v14 offset0:70 offset1:169
	v_pack_b32_f16 v12, v13, v35
	v_fmac_f16_e64 v21, v128, v22
	v_mul_f16_e32 v13, v55, v34
	s_waitcnt vmcnt(9)
	v_lshrrev_b32_e32 v14, 16, v24
	v_mul_f16_e32 v22, v54, v24
	v_fma_f16 v34, v125, v34, -v36
	v_pack_b32_f16 v15, v21, v15
	v_fmac_f16_e32 v13, v125, v23
	v_mul_f16_e32 v21, v54, v14
	v_fma_f16 v14, v124, v14, -v22
	s_waitcnt vmcnt(8)
	v_lshrrev_b32_e32 v22, 16, v25
	v_mul_f16_e32 v23, v53, v25
	ds_store_2addr_b32 v3, v12, v15 offset0:140 offset1:239
	v_pack_b32_f16 v12, v13, v34
	v_fmac_f16_e32 v21, v124, v24
	v_mul_f16_e32 v13, v53, v22
	s_waitcnt vmcnt(7)
	v_lshrrev_b32_e32 v15, 16, v26
	v_mul_f16_e32 v24, v52, v26
	v_fma_f16 v22, v121, v22, -v23
	v_pack_b32_f16 v14, v21, v14
	v_fmac_f16_e32 v13, v121, v25
	v_mul_f16_e32 v21, v52, v15
	s_waitcnt vmcnt(6)
	v_lshrrev_b32_e32 v23, 16, v27
	v_fma_f16 v15, v120, v15, -v24
	v_mul_f16_e32 v24, v51, v27
	ds_store_2addr_b32 v4, v12, v14 offset0:82 offset1:181
	v_pack_b32_f16 v12, v13, v22
	v_fmac_f16_e32 v21, v120, v26
	v_mul_f16_e32 v13, v51, v23
	s_waitcnt vmcnt(5)
	v_lshrrev_b32_e32 v14, 16, v28
	v_mul_f16_e32 v22, v50, v28
	v_fma_f16 v23, v117, v23, -v24
	v_pack_b32_f16 v15, v21, v15
	v_fmac_f16_e32 v13, v117, v27
	v_mul_f16_e32 v21, v50, v14
	v_fma_f16 v14, v116, v14, -v22
	s_waitcnt vmcnt(4)
	v_lshrrev_b32_e32 v22, 16, v29
	v_mul_f16_e32 v24, v49, v29
	ds_store_2addr_b32 v5, v12, v15 offset0:24 offset1:123
	v_pack_b32_f16 v12, v13, v23
	v_fmac_f16_e32 v21, v116, v28
	s_waitcnt vmcnt(3)
	v_lshrrev_b32_e32 v13, 16, v30
	v_mul_f16_e32 v23, v48, v30
	v_mul_f16_e32 v15, v49, v22
	v_fma_f16 v22, v47, v22, -v24
	v_pack_b32_f16 v14, v21, v14
	v_mul_f16_e32 v21, v48, v13
	s_waitcnt vmcnt(2)
	v_lshrrev_b32_e32 v24, 16, v31
	v_fma_f16 v13, v46, v13, -v23
	v_mul_f16_e32 v23, v45, v31
	s_waitcnt vmcnt(1)
	v_lshrrev_b32_e32 v25, 16, v32
	s_waitcnt vmcnt(0)
	v_lshrrev_b32_e32 v27, 16, v33
	v_mul_f16_e32 v26, v45, v24
	v_fmac_f16_e32 v15, v47, v29
	v_fma_f16 v23, v44, v24, -v23
	v_mul_f16_e32 v24, v43, v32
	v_mul_f16_e32 v28, v43, v25
	v_fmac_f16_e32 v21, v46, v30
	v_mul_f16_e32 v29, v41, v33
	v_mul_f16_e32 v30, v41, v27
	v_fmac_f16_e32 v26, v44, v31
	v_fma_f16 v24, v42, v25, -v24
	v_fmac_f16_e32 v28, v42, v32
	v_fma_f16 v25, v40, v27, -v29
	v_fmac_f16_e32 v30, v40, v33
	v_pack_b32_f16 v15, v15, v22
	v_pack_b32_f16 v13, v21, v13
	;; [unrolled: 1-line block ×5, first 2 shown]
	ds_store_2addr_b32 v6, v12, v14 offset0:94 offset1:193
	ds_store_2addr_b32 v7, v15, v13 offset0:36 offset1:135
	;; [unrolled: 1-line block ×3, first 2 shown]
	ds_store_b32 v207, v23 offset:6336
	s_and_saveexec_b32 s3, vcc_lo
	s_cbranch_execz .LBB0_3
; %bb.2:
	v_mad_u64_u32 v[11:12], null, 0xffffe80c, s4, v[0:1]
	scratch_load_b32 v0, off, off           ; 4-byte Folded Reload
	s_mul_i32 s2, s5, 0xffffe80c
	s_delay_alu instid0(SALU_CYCLE_1) | instskip(SKIP_2) | instid1(VALU_DEP_1)
	s_sub_i32 s2, s2, s4
	s_waitcnt vmcnt(0)
	v_or_b32_e32 v23, 0x600, v0
	v_mad_u64_u32 v[0:1], null, s4, v23, 0
	s_delay_alu instid0(VALU_DEP_1) | instskip(SKIP_3) | instid1(VALU_DEP_3)
	v_mad_u64_u32 v[21:22], null, s5, v23, v[1:2]
	v_add_nc_u32_e32 v12, s2, v12
	v_add_co_u32 v13, s2, v11, s14
	v_lshlrev_b32_e32 v1, 2, v23
	v_add_co_ci_u32_e64 v14, s2, s15, v12, s2
	global_load_b32 v15, v[11:12], off
	v_add_co_u32 v11, s2, v13, s14
	s_delay_alu instid0(VALU_DEP_1) | instskip(SKIP_2) | instid1(VALU_DEP_1)
	v_add_co_ci_u32_e64 v12, s2, s15, v14, s2
	global_load_b32 v24, v[13:14], off
	v_add_co_u32 v13, s2, v11, s14
	v_add_co_ci_u32_e64 v14, s2, s15, v12, s2
	s_clause 0x10
	global_load_b32 v25, v[18:19], off offset:204
	global_load_b32 v26, v[18:19], off offset:600
	;; [unrolled: 1-line block ×16, first 2 shown]
	global_load_b32 v41, v1, s[12:13]
	v_mov_b32_e32 v1, v21
	v_add_co_u32 v22, s2, v13, s14
	s_delay_alu instid0(VALU_DEP_1) | instskip(NEXT) | instid1(VALU_DEP_3)
	v_add_co_ci_u32_e64 v23, s2, s15, v14, s2
	v_lshlrev_b64 v[0:1], 2, v[0:1]
	global_load_b32 v42, v[11:12], off
	global_load_b32 v43, v[13:14], off
	;; [unrolled: 1-line block ×3, first 2 shown]
	v_add_co_u32 v11, s2, v22, s14
	s_delay_alu instid0(VALU_DEP_1) | instskip(SKIP_1) | instid1(VALU_DEP_1)
	v_add_co_ci_u32_e64 v12, s2, s15, v23, s2
	v_add_co_u32 v0, s2, v9, v0
	v_add_co_ci_u32_e64 v1, s2, v10, v1, s2
	s_delay_alu instid0(VALU_DEP_4) | instskip(NEXT) | instid1(VALU_DEP_1)
	v_add_co_u32 v9, s2, v11, s14
	v_add_co_ci_u32_e64 v10, s2, s15, v12, s2
	global_load_b32 v23, v[0:1], off
	v_add_co_u32 v0, s2, v9, s14
	s_delay_alu instid0(VALU_DEP_1) | instskip(SKIP_2) | instid1(VALU_DEP_1)
	v_add_co_ci_u32_e64 v1, s2, s15, v10, s2
	global_load_b32 v45, v[11:12], off
	v_add_co_u32 v11, s2, v0, s14
	v_add_co_ci_u32_e64 v12, s2, s15, v1, s2
	global_load_b32 v46, v[9:10], off
	v_add_co_u32 v13, s2, v11, s14
	s_delay_alu instid0(VALU_DEP_1) | instskip(SKIP_2) | instid1(VALU_DEP_1)
	v_add_co_ci_u32_e64 v14, s2, s15, v12, s2
	global_load_b32 v47, v[0:1], off
	;; [unrolled: 7-line block ×4, first 2 shown]
	v_add_co_u32 v13, s2, v11, s14
	v_add_co_ci_u32_e64 v14, s2, s15, v12, s2
	global_load_b32 v51, v[21:22], off
	v_mad_u64_u32 v[9:10], null, 0x318, s4, v[13:14]
	s_delay_alu instid0(VALU_DEP_1)
	v_mov_b32_e32 v0, v10
	s_waitcnt vmcnt(30)
	v_lshrrev_b32_e32 v61, 16, v15
	s_waitcnt vmcnt(29)
	v_lshrrev_b32_e32 v66, 16, v24
	;; [unrolled: 2-line block ×9, first 2 shown]
	v_lshrrev_b32_e32 v58, 16, v35
	v_lshrrev_b32_e32 v59, 16, v36
	;; [unrolled: 1-line block ×6, first 2 shown]
	s_waitcnt vmcnt(2)
	v_mad_u64_u32 v[21:22], null, 0x318, s5, v[0:1]
	global_load_b32 v0, v[11:12], off
	v_lshrrev_b32_e32 v22, 16, v28
	v_add_nc_u32_e32 v12, 0x1000, v207
	v_mov_b32_e32 v10, v21
	global_load_b32 v11, v[13:14], off
	global_load_b32 v9, v[9:10], off
	v_lshrrev_b32_e32 v13, 16, v25
	v_lshrrev_b32_e32 v14, 16, v26
	;; [unrolled: 1-line block ×3, first 2 shown]
	v_add_nc_u32_e32 v10, 0x600, v207
	s_delay_alu instid0(VALU_DEP_4) | instskip(SKIP_3) | instid1(VALU_DEP_4)
	v_mul_f16_e32 v65, v13, v15
	v_mul_f16_e32 v13, v13, v61
	;; [unrolled: 1-line block ×4, first 2 shown]
	v_fma_f16 v61, v25, v61, -v65
	s_delay_alu instid0(VALU_DEP_4)
	v_fmac_f16_e32 v13, v25, v15
	v_lshrrev_b32_e32 v15, 16, v42
	v_fma_f16 v25, v26, v66, -v68
	v_mul_f16_e32 v65, v21, v42
	v_fmac_f16_e32 v14, v26, v24
	v_lshrrev_b32_e32 v24, 16, v43
	v_mul_f16_e32 v21, v21, v15
	v_mul_f16_e32 v26, v22, v43
	v_pack_b32_f16 v13, v13, v61
	v_fma_f16 v15, v27, v15, -v65
	v_pack_b32_f16 v14, v14, v25
	v_fmac_f16_e32 v21, v27, v42
	v_mul_f16_e32 v22, v22, v24
	v_fma_f16 v24, v28, v24, -v26
	v_lshrrev_b32_e32 v25, 16, v44
	v_mul_f16_e32 v26, v52, v44
	ds_store_2addr_b32 v207, v13, v14 offset0:51 offset1:150
	v_pack_b32_f16 v13, v21, v15
	v_fmac_f16_e32 v22, v28, v43
	v_mul_f16_e32 v14, v52, v25
	v_fma_f16 v15, v29, v25, -v26
	v_lshrrev_b32_e32 v21, 16, v45
	v_mul_f16_e32 v25, v53, v45
	v_lshrrev_b32_e32 v27, 16, v23
	v_pack_b32_f16 v22, v22, v24
	v_fmac_f16_e32 v14, v29, v44
	v_mul_f16_e32 v24, v53, v21
	v_fma_f16 v21, v30, v21, -v25
	v_lshrrev_b32_e32 v25, 16, v46
	v_mul_f16_e32 v26, v67, v27
	v_mul_f16_e32 v28, v54, v46
	ds_store_2addr_b32 v2, v13, v22 offset0:121 offset1:220
	v_pack_b32_f16 v13, v14, v15
	v_fmac_f16_e32 v24, v30, v45
	v_mul_f16_e32 v14, v54, v25
	v_lshrrev_b32_e32 v15, 16, v47
	v_mul_f16_e32 v22, v55, v47
	v_mul_f16_e32 v42, v67, v23
	v_fmac_f16_e32 v26, v41, v23
	v_fma_f16 v23, v31, v25, -v28
	v_pack_b32_f16 v21, v24, v21
	v_fmac_f16_e32 v14, v31, v46
	v_mul_f16_e32 v24, v55, v15
	v_fma_f16 v15, v32, v15, -v22
	v_lshrrev_b32_e32 v22, 16, v48
	ds_store_2addr_b32 v10, v13, v21 offset0:63 offset1:162
	v_pack_b32_f16 v10, v14, v23
	v_fmac_f16_e32 v24, v32, v47
	v_lshrrev_b32_e32 v14, 16, v49
	v_mul_f16_e32 v25, v56, v48
	v_mul_f16_e32 v13, v56, v22
	;; [unrolled: 1-line block ×3, first 2 shown]
	v_pack_b32_f16 v15, v24, v15
	v_mul_f16_e32 v23, v57, v14
	v_fma_f16 v22, v33, v22, -v25
	v_fmac_f16_e32 v13, v33, v48
	v_fma_f16 v14, v34, v14, -v21
	s_waitcnt vmcnt(4)
	v_lshrrev_b32_e32 v21, 16, v50
	ds_store_2addr_b32 v4, v10, v15 offset0:133 offset1:232
	v_fmac_f16_e32 v23, v34, v49
	v_lshrrev_b32_e32 v15, 16, v1
	v_mul_f16_e32 v24, v58, v50
	v_pack_b32_f16 v10, v13, v22
	v_mul_f16_e32 v13, v58, v21
	v_mul_f16_e32 v22, v59, v1
	v_pack_b32_f16 v14, v23, v14
	v_mul_f16_e32 v23, v59, v15
	v_fma_f16 v21, v35, v21, -v24
	v_fmac_f16_e32 v13, v35, v50
	v_fma_f16 v15, v36, v15, -v22
	s_waitcnt vmcnt(3)
	v_lshrrev_b32_e32 v22, 16, v51
	v_mul_f16_e32 v24, v60, v51
	ds_store_2addr_b32 v5, v10, v14 offset0:75 offset1:174
	v_fmac_f16_e32 v23, v36, v1
	v_pack_b32_f16 v10, v13, v21
	v_mul_f16_e32 v1, v60, v22
	v_fma_f16 v13, v37, v22, -v24
	v_fma_f16 v27, v41, v27, -v42
	v_pack_b32_f16 v15, v23, v15
	s_delay_alu instid0(VALU_DEP_4) | instskip(NEXT) | instid1(VALU_DEP_1)
	v_fmac_f16_e32 v1, v37, v51
	v_pack_b32_f16 v1, v1, v13
	s_delay_alu instid0(VALU_DEP_4) | instskip(SKIP_3) | instid1(VALU_DEP_2)
	v_pack_b32_f16 v13, v26, v27
	s_waitcnt vmcnt(2)
	v_lshrrev_b32_e32 v14, 16, v0
	v_mul_f16_e32 v21, v62, v0
	v_mul_f16_e32 v23, v62, v14
	s_delay_alu instid0(VALU_DEP_2)
	v_fma_f16 v14, v38, v14, -v21
	s_waitcnt vmcnt(1)
	v_lshrrev_b32_e32 v22, 16, v11
	v_mul_f16_e32 v24, v63, v11
	s_waitcnt vmcnt(0)
	v_lshrrev_b32_e32 v25, 16, v9
	v_fmac_f16_e32 v23, v38, v0
	v_mul_f16_e32 v21, v63, v22
	v_fma_f16 v0, v39, v22, -v24
	s_delay_alu instid0(VALU_DEP_4) | instskip(SKIP_1) | instid1(VALU_DEP_4)
	v_mul_f16_e32 v22, v64, v25
	v_mul_f16_e32 v24, v64, v9
	v_fmac_f16_e32 v21, v39, v11
	v_pack_b32_f16 v11, v23, v14
	s_delay_alu instid0(VALU_DEP_4) | instskip(NEXT) | instid1(VALU_DEP_4)
	v_fmac_f16_e32 v22, v40, v9
	v_fma_f16 v9, v40, v25, -v24
	v_add_nc_u32_e32 v14, 0x1600, v207
	v_pack_b32_f16 v0, v21, v0
	s_delay_alu instid0(VALU_DEP_3)
	v_pack_b32_f16 v9, v22, v9
	ds_store_2addr_b32 v12, v10, v15 offset0:17 offset1:116
	ds_store_2addr_b32 v7, v1, v11 offset0:87 offset1:186
	;; [unrolled: 1-line block ×3, first 2 shown]
	ds_store_b32 v207, v9 offset:6540
.LBB0_3:
	s_or_b32 exec_lo, exec_lo, s3
	s_waitcnt lgkmcnt(0)
	s_waitcnt_vscnt null, 0x0
	s_barrier
	buffer_gl0_inv
	ds_load_2addr_b32 v[21:22], v207 offset1:99
	ds_load_2addr_b32 v[33:34], v2 offset0:70 offset1:169
	ds_load_2addr_b32 v[29:30], v3 offset0:140 offset1:239
	;; [unrolled: 1-line block ×7, first 2 shown]
	ds_load_b32 v90, v207 offset:6336
	s_load_b64 s[0:1], s[0:1], 0x8
	v_mov_b32_e32 v4, 0
                                        ; kill: def $vgpr0 killed $sgpr0 killed $exec
                                        ; implicit-def: $vgpr37
                                        ; implicit-def: $vgpr1
                                        ; implicit-def: $vgpr3
                                        ; implicit-def: $vgpr7
                                        ; implicit-def: $vgpr9
                                        ; implicit-def: $vgpr11
                                        ; implicit-def: $vgpr13
                                        ; implicit-def: $vgpr15
                                        ; implicit-def: $vgpr87
	s_and_saveexec_b32 s2, vcc_lo
	s_cbranch_execz .LBB0_5
; %bb.4:
	v_add_nc_u32_e32 v0, 0x200, v207
	v_add_nc_u32_e32 v1, 0x600, v207
	;; [unrolled: 1-line block ×3, first 2 shown]
	ds_load_2addr_b32 v[4:5], v207 offset0:51 offset1:150
	v_add_nc_u32_e32 v3, 0x1200, v207
	ds_load_2addr_b32 v[14:15], v0 offset0:121 offset1:220
	ds_load_2addr_b32 v[12:13], v1 offset0:63 offset1:162
	v_add_nc_u32_e32 v0, 0xc00, v207
	v_add_nc_u32_e32 v1, 0x1000, v207
	;; [unrolled: 1-line block ×3, first 2 shown]
	ds_load_2addr_b32 v[10:11], v2 offset0:133 offset1:232
	ds_load_2addr_b32 v[8:9], v0 offset0:75 offset1:174
	;; [unrolled: 1-line block ×5, first 2 shown]
	ds_load_b32 v37, v207 offset:6540
	s_waitcnt lgkmcnt(0)
	v_alignbit_b32 v87, v14, v14, 16
.LBB0_5:
	s_or_b32 exec_lo, exec_lo, s2
	scratch_load_b32 v20, off, off          ; 4-byte Folded Reload
	s_waitcnt lgkmcnt(0)
	v_pk_add_f16 v38, v21, v22
	v_pk_add_f16 v14, v5, v37 neg_lo:[0,1] neg_hi:[0,1]
	v_pk_add_f16 v40, v37, v5
	v_pk_add_f16 v42, v87, v1 op_sel:[1,0] op_sel_hi:[0,1] neg_lo:[0,1] neg_hi:[0,1]
	v_pk_add_f16 v39, v15, v0 neg_lo:[0,1] neg_hi:[0,1]
	v_pk_add_f16 v41, v38, v33
	v_lshrrev_b32_e32 v72, 16, v14
	v_pk_add_f16 v38, v1, v87 op_sel:[1,0] op_sel_hi:[0,1]
	v_lshrrev_b32_e32 v55, 16, v40
	v_mul_f16_e32 v69, 0xb5c8, v14
	v_pk_add_f16 v41, v41, v34
	v_mul_f16_e32 v63, 0xb5c8, v72
	v_lshrrev_b32_e32 v76, 16, v42
	v_lshrrev_b32_e32 v54, 16, v4
	;; [unrolled: 1-line block ×3, first 2 shown]
	v_pk_add_f16 v41, v41, v29
	v_fmamk_f16 v43, v40, 0x3b76, v63
	v_fma_f16 v44, v55, 0x3b76, -v69
	v_mul_f16_e32 v64, 0xb964, v76
	v_mul_f16_e32 v70, 0xb964, v42
	v_lshrrev_b32_e32 v77, 16, v39
	v_pk_add_f16 v49, v41, v30
	v_add_f16_e32 v45, v43, v4
	v_add_f16_e32 v44, v44, v54
	v_pk_add_f16 v43, v0, v15
	v_fmamk_f16 v46, v53, 0x39e9, v64
	v_fma_f16 v47, v38, 0x39e9, -v70
	v_mul_f16_e32 v65, 0xbb29, v77
	v_pk_add_f16 v41, v12, v3 neg_lo:[0,1] neg_hi:[0,1]
	v_lshrrev_b32_e32 v56, 16, v43
	v_mul_f16_e32 v71, 0xbb29, v39
	v_add_f16_e32 v45, v46, v45
	v_add_f16_e32 v47, v47, v44
	v_lshrrev_b32_e32 v80, 16, v41
	v_fmamk_f16 v48, v43, 0x3722, v65
	v_pk_add_f16 v44, v13, v2 neg_lo:[0,1] neg_hi:[0,1]
	v_fma_f16 v50, v56, 0x3722, -v71
	v_pk_add_f16 v46, v3, v12
	v_mul_f16_e32 v67, 0xbbf7, v80
	v_add_f16_e32 v48, v48, v45
	v_lshrrev_b32_e32 v79, 16, v44
	v_pk_add_f16 v45, v10, v7 neg_lo:[0,1] neg_hi:[0,1]
	v_add_f16_e32 v50, v50, v47
	v_lshrrev_b32_e32 v57, 16, v46
	v_fmamk_f16 v51, v46, 0x2de8, v67
	v_mul_f16_e32 v73, 0xbbf7, v41
	v_pk_add_f16 v47, v2, v13
	v_mul_f16_e32 v66, 0xbbb2, v79
	v_lshrrev_b32_e32 v82, 16, v45
	v_pk_add_f16 v49, v49, v25
	v_add_f16_e32 v51, v51, v48
	v_fma_f16 v52, v57, 0x2de8, -v73
	v_fmamk_f16 v59, v47, 0xb461, v66
	v_pk_add_f16 v48, v7, v10
	v_mul_f16_e32 v68, 0xba62, v82
	v_pk_add_f16 v49, v49, v26
	v_lshrrev_b32_e32 v58, 16, v47
	v_mul_f16_e32 v74, 0xbbb2, v44
	v_add_f16_e32 v52, v52, v50
	v_add_f16_e32 v51, v59, v51
	v_fmamk_f16 v61, v48, 0xb8d2, v68
	v_pk_add_f16 v50, v11, v6 neg_lo:[0,1] neg_hi:[0,1]
	v_pk_add_f16 v62, v49, v23
	v_fma_f16 v59, v58, 0xb461, -v74
	v_lshrrev_b32_e32 v60, 16, v48
	v_mul_f16_e32 v84, 0xba62, v45
	v_add_f16_e32 v88, v61, v51
	v_lshrrev_b32_e32 v85, 16, v50
	v_pk_add_f16 v51, v6, v11
	v_pk_add_f16 v49, v8, v9 neg_lo:[0,1] neg_hi:[0,1]
	v_pk_add_f16 v62, v62, v24
	v_add_f16_e32 v52, v59, v52
	v_fma_f16 v59, v60, 0xb8d2, -v84
	v_mul_f16_e32 v78, 0xb836, v85
	v_lshrrev_b32_e32 v61, 16, v51
	v_mul_f16_e32 v83, 0xb836, v50
	v_lshrrev_b32_e32 v86, 16, v49
	v_pk_add_f16 v91, v62, v27
	v_add_f16_e32 v59, v59, v52
	v_pk_add_f16 v52, v9, v8
	v_fmamk_f16 v89, v51, 0xbacd, v78
	v_fma_f16 v92, v61, 0xbacd, -v83
	v_mul_f16_e32 v75, 0xb1e1, v86
	v_pk_add_f16 v91, v91, v28
	v_lshrrev_b32_e32 v62, 16, v52
	v_mul_f16_e32 v81, 0xb1e1, v49
	v_add_f16_e32 v88, v89, v88
	v_add_f16_e32 v89, v92, v59
	v_fmamk_f16 v92, v52, 0xbbdd, v75
	v_pk_add_f16 v91, v91, v31
	v_fma_f16 v93, v62, 0xbbdd, -v81
	s_waitcnt vmcnt(0)
	s_barrier
	v_add_f16_e32 v110, v92, v88
	v_pk_add_f16 v91, v91, v32
	v_pk_add_f16 v88, v22, v90 neg_lo:[0,1] neg_hi:[0,1]
	v_add_f16_e32 v106, v93, v89
	v_pk_add_f16 v89, v90, v22
	buffer_gl0_inv
	v_pk_add_f16 v91, v91, v35
	v_lshrrev_b32_e32 v93, 16, v88
	v_mul_f16_e32 v96, 0xb964, v88
	v_lshrrev_b32_e32 v95, 16, v89
	v_mul_f16_e64 v146, 0xbbf7, v88
	v_pk_add_f16 v91, v91, v36
	v_mul_f16_e64 v143, 0xbbf7, v93
	v_mul_f16_e64 v150, 0xbbb2, v88
	v_fmamk_f16 v99, v95, 0x39e9, v96
	v_mul_f16_e64 v152, 0xba62, v93
	v_mul_f16_e32 v100, 0xbb29, v93
	v_mul_f16_e64 v147, 0xbbb2, v93
	v_mul_f16_e64 v153, 0xba62, v88
	;; [unrolled: 1-line block ×3, first 2 shown]
	s_delay_alu instid0(VALU_DEP_4) | instskip(SKIP_1) | instid1(VALU_DEP_4)
	v_fma_f16 v102, v89, 0x3722, -v100
	v_fmac_f16_e32 v100, 0x3722, v89
	v_fma_f16 v155, 0xb8d2, v95, v153
	v_fma_f16 v153, v95, 0xb8d2, -v153
	v_fma_f16 v149, v89, 0xb461, -v147
	v_add_f16_e32 v102, v21, v102
	v_add_f16_e32 v100, v21, v100
	v_fmac_f16_e64 v147, 0xb461, v89
	s_delay_alu instid0(VALU_DEP_4) | instskip(NEXT) | instid1(VALU_DEP_2)
	v_add_f16_e64 v149, v21, v149
	v_add_f16_e64 v147, v21, v147
	v_mul_lo_u16 v92, v20, 17
	v_add_co_u32 v59, s2, v20, 51
	s_delay_alu instid0(VALU_DEP_1) | instskip(NEXT) | instid1(VALU_DEP_3)
	v_add_co_ci_u32_e64 v94, null, 0, 0, s2
	v_and_b32_e32 v22, 0xffff, v92
	v_mul_f16_e32 v92, 0xb5c8, v93
	v_pk_mul_f16 v94, 0x3b7639e9, v89
	v_mul_f16_e32 v93, 0xb836, v93
	v_mul_u32_u24_e32 v108, 17, v59
	v_lshlrev_b32_e32 v144, 2, v22
	v_pk_add_f16 v22, v91, v90
	v_fma_f16 v90, v89, 0x3b76, -v92
	v_pk_fma_f16 v91, 0xb964b5c8, v88, v94 op_sel:[0,0,1] op_sel_hi:[1,1,0] neg_lo:[0,1,0] neg_hi:[0,1,0]
	v_pk_fma_f16 v94, 0xb964b5c8, v88, v94 op_sel:[0,0,1] op_sel_hi:[1,1,0]
	v_fmac_f16_e32 v92, 0x3b76, v89
	v_fma_f16 v157, v89, 0xbacd, -v93
	v_add_f16_e32 v97, v21, v90
	v_fmac_f16_e32 v93, 0xbacd, v89
	v_bfi_b32 v90, 0xffff, v94, v91
	v_add_f16_e32 v98, v21, v92
	v_lshrrev_b32_e32 v92, 16, v21
	v_pk_add_f16 v94, v21, v94 op_sel:[1,0] op_sel_hi:[0,1]
	v_add_f16_e64 v161, v21, v93
	v_pk_add_f16 v101, v21, v90 op_sel:[1,0] op_sel_hi:[0,1]
	v_fma_f16 v90, v95, 0x39e9, -v96
	v_mul_f16_e32 v96, 0xbb29, v88
	v_add_f16_e32 v99, v92, v99
	v_add_f16_e64 v155, v92, v155
	v_add_f16_e64 v153, v92, v153
	v_add_f16_e32 v103, v92, v90
	v_fmamk_f16 v90, v95, 0x3722, v96
	v_fma_f16 v96, v95, 0x3722, -v96
	v_add_f16_e64 v157, v21, v157
	v_add_f16_e32 v91, v92, v91
	s_delay_alu instid0(VALU_DEP_4) | instskip(SKIP_3) | instid1(VALU_DEP_3)
	v_add_f16_e64 v145, v92, v90
	v_fma_f16 v90, v89, 0x2de8, -v143
	v_add_f16_e32 v96, v92, v96
	v_fmac_f16_e64 v143, 0x2de8, v89
	v_add_f16_e64 v148, v21, v90
	v_fma_f16 v90, 0x2de8, v95, v146
	v_fma_f16 v146, v95, 0x2de8, -v146
	s_delay_alu instid0(VALU_DEP_4) | instskip(NEXT) | instid1(VALU_DEP_3)
	v_add_f16_e64 v143, v21, v143
	v_add_f16_e64 v151, v92, v90
	v_fma_f16 v90, 0xb461, v95, v150
	v_fma_f16 v150, v95, 0xb461, -v150
	v_add_f16_e64 v146, v92, v146
	s_delay_alu instid0(VALU_DEP_3) | instskip(SKIP_4) | instid1(VALU_DEP_4)
	v_add_f16_e64 v154, v92, v90
	v_fma_f16 v90, v89, 0xb8d2, -v152
	v_fmac_f16_e64 v152, 0xb8d2, v89
	v_add_f16_e64 v150, v92, v150
	v_pk_mul_f16 v89, 0xbbdd, v89 op_sel_hi:[0,1]
	v_add_f16_e64 v156, v21, v90
	v_pk_add_f16 v90, v33, v36 neg_lo:[0,1] neg_hi:[0,1]
	v_pk_add_f16 v33, v36, v33
	v_fma_f16 v36, 0xbacd, v95, v158
	v_fma_f16 v95, v95, 0xbacd, -v158
	v_add_f16_e64 v152, v21, v152
	v_lshrrev_b32_e32 v159, 16, v90
	v_pk_mul_f16 v158, 0x39e92de8, v33
	v_add_f16_e64 v160, v92, v36
	v_lshrrev_b32_e32 v163, 16, v33
	v_mul_f16_e64 v164, 0xbbf7, v90
	v_mul_f16_e64 v36, 0xb964, v159
	v_pk_fma_f16 v93, 0xbbf7b964, v90, v158 op_sel:[0,0,1] op_sel_hi:[1,1,0] neg_lo:[0,1,0] neg_hi:[0,1,0]
	v_pk_fma_f16 v158, 0xbbf7b964, v90, v158 op_sel:[0,0,1] op_sel_hi:[1,1,0]
	v_add_f16_e32 v95, v92, v95
	s_delay_alu instid0(VALU_DEP_4) | instskip(SKIP_1) | instid1(VALU_DEP_4)
	v_fma_f16 v162, v33, 0x39e9, -v36
	v_fmac_f16_e32 v36, 0x39e9, v33
	v_bfi_b32 v165, 0xffff, v158, v93
	v_pk_add_f16 v158, v158, v94
	v_add_f16_e32 v91, v93, v91
	v_add_f16_e64 v97, v162, v97
	v_add_f16_e32 v98, v36, v98
	v_pk_add_f16 v101, v165, v101
	v_mul_f16_e64 v165, 0xba62, v90
	v_mul_f16_e64 v36, 0xba62, v159
	v_fma_f16 v162, 0x2de8, v163, v164
	v_fma_f16 v164, v163, 0x2de8, -v164
	v_pk_add_f16 v93, v23, v24 neg_lo:[0,1] neg_hi:[0,1]
	v_fma_f16 v94, 0xb8d2, v163, v165
	v_fma_f16 v166, v33, 0xb8d2, -v36
	v_add_f16_e64 v99, v162, v99
	v_add_f16_e64 v103, v164, v103
	v_mul_f16_e64 v162, 0xb1e1, v159
	v_fmac_f16_e32 v36, 0xb8d2, v33
	v_fma_f16 v164, v163, 0xb8d2, -v165
	v_add_f16_e64 v145, v94, v145
	v_mul_f16_e32 v94, 0xb1e1, v90
	v_fma_f16 v165, v33, 0xbbdd, -v162
	v_add_f16_e32 v100, v36, v100
	v_add_f16_e64 v96, v164, v96
	v_mul_f16_e64 v36, 0x3836, v159
	v_fma_f16 v164, 0xbbdd, v163, v94
	v_add_f16_e64 v148, v165, v148
	v_fmac_f16_e64 v162, 0xbbdd, v33
	v_fma_f16 v94, v163, 0xbbdd, -v94
	v_fma_f16 v165, v33, 0xbacd, -v36
	v_add_f16_e64 v151, v164, v151
	v_mul_f16_e64 v164, 0x3836, v90
	v_add_f16_e64 v143, v162, v143
	v_add_f16_e64 v146, v94, v146
	;; [unrolled: 1-line block ×3, first 2 shown]
	v_mul_f16_e64 v94, 0x3bb2, v159
	v_fma_f16 v162, 0xbacd, v163, v164
	v_mul_f16_e64 v165, 0x3bb2, v90
	v_add_f16_e64 v102, v166, v102
	v_fmac_f16_e32 v36, 0xbacd, v33
	v_fma_f16 v166, v33, 0xb461, -v94
	v_add_f16_e64 v154, v162, v154
	v_fma_f16 v162, 0xb461, v163, v165
	v_fmac_f16_e32 v94, 0xb461, v33
	v_fma_f16 v164, v163, 0xbacd, -v164
	v_add_f16_e64 v147, v36, v147
	v_mul_f16_e64 v159, 0x3b29, v159
	v_add_f16_e64 v155, v162, v155
	v_fma_f16 v162, v163, 0xb461, -v165
	v_pk_add_f16 v36, v34, v35 neg_lo:[0,1] neg_hi:[0,1]
	v_add_f16_e64 v152, v94, v152
	v_mul_f16_e32 v94, 0x3b29, v90
	v_pk_add_f16 v34, v35, v34
	v_add_f16_e64 v150, v164, v150
	v_add_f16_e64 v153, v162, v153
	v_fma_f16 v162, v33, 0x3722, -v159
	v_lshrrev_b32_e32 v164, 16, v36
	v_fma_f16 v35, 0x3722, v163, v94
	v_pk_mul_f16 v165, 0x3722b8d2, v34
	v_fmac_f16_e64 v159, 0x3722, v33
	v_add_f16_e64 v157, v162, v157
	v_mul_f16_e64 v162, 0xbb29, v164
	v_add_f16_e64 v160, v35, v160
	v_fma_f16 v35, v163, 0x3722, -v94
	v_pk_fma_f16 v94, 0xba62bb29, v36, v165 op_sel:[0,0,1] op_sel_hi:[1,1,0] neg_lo:[0,1,0] neg_hi:[0,1,0]
	v_pk_fma_f16 v163, 0xba62bb29, v36, v165 op_sel:[0,0,1] op_sel_hi:[1,1,0]
	v_add_f16_e64 v156, v166, v156
	v_add_f16_e64 v159, v159, v161
	v_fma_f16 v161, v34, 0x3722, -v162
	v_fmac_f16_e64 v162, 0x3722, v34
	v_lshrrev_b32_e32 v165, 16, v34
	v_mul_f16_e64 v166, 0xba62, v36
	v_add_f16_e32 v95, v35, v95
	v_bfi_b32 v35, 0xffff, v163, v94
	v_add_f16_e64 v97, v161, v97
	v_add_f16_e64 v98, v162, v98
	v_fma_f16 v161, 0xb8d2, v165, v166
	v_mul_f16_e64 v162, 0x31e1, v164
	v_pk_add_f16 v101, v35, v101
	v_fma_f16 v35, v165, 0xb8d2, -v166
	v_mul_f16_e64 v166, 0x31e1, v36
	v_add_f16_e64 v99, v161, v99
	v_fma_f16 v161, v34, 0xbbdd, -v162
	v_pk_add_f16 v158, v163, v158
	v_add_f16_e32 v103, v35, v103
	v_fma_f16 v35, 0xbbdd, v165, v166
	v_mul_f16_e64 v163, 0x3bb2, v164
	v_add_f16_e64 v102, v161, v102
	v_fmac_f16_e64 v162, 0xbbdd, v34
	v_fma_f16 v161, v165, 0xbbdd, -v166
	v_add_f16_e64 v145, v35, v145
	v_fma_f16 v35, v34, 0xb461, -v163
	v_mul_f16_e64 v166, 0x3bb2, v36
	v_add_f16_e64 v100, v162, v100
	v_add_f16_e64 v96, v161, v96
	v_mul_f16_e64 v161, 0x3964, v164
	v_add_f16_e64 v148, v35, v148
	v_fma_f16 v35, 0xb461, v165, v166
	v_fmac_f16_e64 v163, 0xb461, v34
	v_fma_f16 v162, v165, 0xb461, -v166
	v_mul_f16_e64 v167, 0x3964, v36
	v_fma_f16 v166, v34, 0x39e9, -v161
	v_add_f16_e64 v151, v35, v151
	v_add_f16_e64 v143, v163, v143
	;; [unrolled: 1-line block ×3, first 2 shown]
	v_fma_f16 v35, 0x39e9, v165, v167
	v_fmac_f16_e64 v161, 0x39e9, v34
	v_mul_f16_e64 v162, 0xb5c8, v164
	v_mul_f16_e64 v163, 0xb5c8, v36
	;; [unrolled: 1-line block ×3, first 2 shown]
	v_add_f16_e64 v154, v35, v154
	v_add_f16_e64 v147, v161, v147
	v_fma_f16 v35, v34, 0x3b76, -v162
	v_fma_f16 v161, 0x3b76, v165, v163
	v_fmac_f16_e64 v162, 0x3b76, v34
	v_add_f16_e64 v149, v166, v149
	v_fma_f16 v166, v165, 0x39e9, -v167
	v_add_f16_e64 v156, v35, v156
	v_add_f16_e64 v155, v161, v155
	v_fma_f16 v161, v165, 0x3b76, -v163
	v_fma_f16 v163, v34, 0x2de8, -v164
	v_add_f16_e64 v152, v162, v152
	v_mul_f16_e64 v162, 0xbbf7, v36
	v_pk_add_f16 v35, v29, v32 neg_lo:[0,1] neg_hi:[0,1]
	v_pk_add_f16 v29, v32, v29
	v_add_f16_e64 v157, v163, v157
	v_add_f16_e64 v153, v161, v153
	v_fma_f16 v32, 0x2de8, v165, v162
	v_fma_f16 v162, v165, 0x2de8, -v162
	v_pk_mul_f16 v163, 0x2de8bbdd, v29
	v_lshrrev_b32_e32 v161, 16, v35
	v_fmac_f16_e64 v164, 0x2de8, v34
	v_add_f16_e64 v160, v32, v160
	v_add_f16_e64 v95, v162, v95
	v_pk_fma_f16 v162, 0xb1e1bbf7, v35, v163 op_sel:[0,0,1] op_sel_hi:[1,1,0] neg_lo:[0,1,0] neg_hi:[0,1,0]
	v_pk_fma_f16 v163, 0xb1e1bbf7, v35, v163 op_sel:[0,0,1] op_sel_hi:[1,1,0]
	v_mul_f16_e64 v32, 0xbbf7, v161
	v_add_f16_e64 v150, v166, v150
	v_add_f16_e64 v159, v164, v159
	v_lshrrev_b32_e32 v165, 16, v29
	v_bfi_b32 v167, 0xffff, v163, v162
	v_fma_f16 v164, v29, 0x2de8, -v32
	v_fmac_f16_e32 v32, 0x2de8, v29
	v_mul_f16_e64 v166, 0xb1e1, v35
	v_pk_add_f16 v158, v163, v158
	v_pk_add_f16 v101, v167, v101
	v_mul_f16_e64 v167, 0x3bb2, v35
	v_add_f16_e64 v97, v164, v97
	v_add_f16_e32 v98, v32, v98
	v_mul_f16_e64 v32, 0x3bb2, v161
	v_fma_f16 v164, 0xbbdd, v165, v166
	v_fma_f16 v166, v165, 0xbbdd, -v166
	v_fma_f16 v163, 0xb461, v165, v167
	v_add_f16_e32 v91, v94, v91
	v_fma_f16 v168, v29, 0xb461, -v32
	v_add_f16_e64 v99, v164, v99
	v_add_f16_e64 v103, v166, v103
	v_mul_f16_e64 v164, 0x35c8, v161
	v_fmac_f16_e32 v32, 0xb461, v29
	v_fma_f16 v166, v165, 0xb461, -v167
	v_add_f16_e64 v145, v163, v145
	v_mul_f16_e64 v163, 0x35c8, v35
	v_fma_f16 v167, v29, 0x3b76, -v164
	v_add_f16_e32 v100, v32, v100
	v_add_f16_e64 v96, v166, v96
	v_mul_f16_e64 v32, 0xbb29, v161
	v_fma_f16 v166, 0x3b76, v165, v163
	v_add_f16_e64 v148, v167, v148
	v_fmac_f16_e64 v164, 0x3b76, v29
	v_fma_f16 v163, v165, 0x3b76, -v163
	v_fma_f16 v167, v29, 0x3722, -v32
	v_add_f16_e64 v151, v166, v151
	v_mul_f16_e64 v166, 0xbb29, v35
	v_add_f16_e64 v143, v164, v143
	v_add_f16_e64 v146, v163, v146
	;; [unrolled: 1-line block ×3, first 2 shown]
	v_mul_f16_e64 v163, 0xb836, v161
	v_fma_f16 v164, 0x3722, v165, v166
	v_mul_f16_e64 v167, 0xb836, v35
	v_add_f16_e64 v102, v168, v102
	v_fmac_f16_e32 v32, 0x3722, v29
	v_fma_f16 v168, v29, 0xbacd, -v163
	v_add_f16_e64 v154, v164, v154
	v_fma_f16 v164, 0xbacd, v165, v167
	v_fmac_f16_e64 v163, 0xbacd, v29
	v_fma_f16 v166, v165, 0x3722, -v166
	v_add_f16_e64 v147, v32, v147
	v_mul_f16_e64 v161, 0x3a62, v161
	v_add_f16_e64 v155, v164, v155
	v_fma_f16 v164, v165, 0xbacd, -v167
	v_pk_add_f16 v32, v30, v31 neg_lo:[0,1] neg_hi:[0,1]
	v_add_f16_e64 v152, v163, v152
	v_mul_f16_e64 v163, 0x3a62, v35
	v_pk_add_f16 v30, v31, v30
	v_add_f16_e64 v150, v166, v150
	v_add_f16_e64 v153, v164, v153
	v_fma_f16 v164, v29, 0xb8d2, -v161
	v_lshrrev_b32_e32 v166, 16, v32
	v_fma_f16 v31, 0xb8d2, v165, v163
	v_pk_mul_f16 v167, 0xb461bacd, v30
	v_fmac_f16_e64 v161, 0xb8d2, v29
	v_add_f16_e64 v157, v164, v157
	v_mul_f16_e64 v164, 0xbbb2, v166
	v_add_f16_e64 v31, v31, v160
	v_fma_f16 v160, v165, 0xb8d2, -v163
	v_pk_fma_f16 v163, 0x3836bbb2, v32, v167 op_sel:[0,0,1] op_sel_hi:[1,1,0] neg_lo:[0,1,0] neg_hi:[0,1,0]
	v_pk_fma_f16 v165, 0x3836bbb2, v32, v167 op_sel:[0,0,1] op_sel_hi:[1,1,0]
	v_add_f16_e64 v156, v168, v156
	v_add_f16_e64 v159, v161, v159
	v_fma_f16 v161, v30, 0xb461, -v164
	v_fmac_f16_e64 v164, 0xb461, v30
	v_lshrrev_b32_e32 v167, 16, v30
	v_mul_f16_e64 v168, 0x3836, v32
	v_add_f16_e64 v95, v160, v95
	v_bfi_b32 v160, 0xffff, v165, v163
	v_add_f16_e64 v97, v161, v97
	v_add_f16_e64 v98, v164, v98
	v_fma_f16 v161, 0xbacd, v167, v168
	v_mul_f16_e64 v164, 0x3964, v166
	v_pk_add_f16 v101, v160, v101
	v_fma_f16 v160, v167, 0xbacd, -v168
	v_mul_f16_e64 v168, 0x3964, v32
	v_add_f16_e64 v99, v161, v99
	v_fma_f16 v161, v30, 0x39e9, -v164
	v_pk_add_f16 v158, v165, v158
	v_add_f16_e64 v103, v160, v103
	v_fma_f16 v160, 0x39e9, v167, v168
	v_mul_f16_e64 v165, 0xbb29, v166
	v_add_f16_e64 v102, v161, v102
	v_fmac_f16_e64 v164, 0x39e9, v30
	v_fma_f16 v161, v167, 0x39e9, -v168
	v_add_f16_e64 v145, v160, v145
	v_fma_f16 v160, v30, 0x3722, -v165
	v_mul_f16_e64 v168, 0xbb29, v32
	v_add_f16_e64 v100, v164, v100
	v_add_f16_e64 v96, v161, v96
	v_mul_f16_e64 v161, 0xb1e1, v166
	v_add_f16_e64 v148, v160, v148
	v_fma_f16 v160, 0x3722, v167, v168
	v_fmac_f16_e64 v165, 0x3722, v30
	v_fma_f16 v164, v167, 0x3722, -v168
	v_mul_f16_e64 v169, 0xb1e1, v32
	v_fma_f16 v168, v30, 0xbbdd, -v161
	v_add_f16_e64 v151, v160, v151
	v_add_f16_e64 v143, v165, v143
	;; [unrolled: 1-line block ×3, first 2 shown]
	v_fma_f16 v160, 0xbbdd, v167, v169
	v_fmac_f16_e64 v161, 0xbbdd, v30
	v_mul_f16_e64 v164, 0x3bf7, v166
	v_mul_f16_e64 v165, 0x3bf7, v32
	;; [unrolled: 1-line block ×3, first 2 shown]
	v_add_f16_e64 v154, v160, v154
	v_add_f16_e64 v147, v161, v147
	v_fma_f16 v160, v30, 0x2de8, -v164
	v_fma_f16 v161, 0x2de8, v167, v165
	v_fmac_f16_e64 v164, 0x2de8, v30
	v_add_f16_e64 v149, v168, v149
	v_fma_f16 v168, v167, 0xbbdd, -v169
	v_add_f16_e64 v156, v160, v156
	v_add_f16_e64 v155, v161, v155
	v_fma_f16 v160, v167, 0x2de8, -v165
	v_fma_f16 v161, v30, 0x3b76, -v166
	v_add_f16_e64 v152, v164, v152
	v_mul_f16_e64 v164, 0xb5c8, v32
	v_pk_add_f16 v165, v25, v28 neg_lo:[0,1] neg_hi:[0,1]
	v_pk_add_f16 v25, v28, v25
	v_add_f16_e64 v153, v160, v153
	v_add_f16_e64 v157, v161, v157
	v_fma_f16 v28, 0x3b76, v167, v164
	v_lshrrev_b32_e32 v160, 16, v165
	v_fma_f16 v161, v167, 0x3b76, -v164
	v_pk_mul_f16 v164, 0xb8d2b461, v25
	v_fmac_f16_e64 v166, 0x3b76, v30
	v_add_f16_e32 v28, v28, v31
	v_mul_f16_e64 v31, 0xba62, v160
	v_add_f16_e64 v95, v161, v95
	v_pk_fma_f16 v161, 0x3bb2ba62, v165, v164 op_sel:[0,0,1] op_sel_hi:[1,1,0] neg_lo:[0,1,0] neg_hi:[0,1,0]
	v_pk_fma_f16 v164, 0x3bb2ba62, v165, v164 op_sel:[0,0,1] op_sel_hi:[1,1,0]
	v_add_f16_e64 v150, v168, v150
	v_add_f16_e64 v159, v166, v159
	v_fma_f16 v166, v25, 0xb8d2, -v31
	v_fmac_f16_e32 v31, 0xb8d2, v25
	v_lshrrev_b32_e32 v167, 16, v25
	v_mul_f16_e64 v168, 0x3bb2, v165
	v_bfi_b32 v169, 0xffff, v164, v161
	v_add_f16_e64 v97, v166, v97
	v_add_f16_e32 v31, v31, v98
	v_mul_f16_e64 v98, 0xb5c8, v160
	v_fma_f16 v166, 0xb461, v167, v168
	v_pk_add_f16 v101, v169, v101
	v_fma_f16 v168, v167, 0xb461, -v168
	v_mul_f16_e64 v169, 0xb5c8, v165
	v_fma_f16 v170, v25, 0x3b76, -v98
	v_add_f16_e64 v99, v166, v99
	v_pk_add_f16 v158, v164, v158
	v_add_f16_e64 v103, v168, v103
	v_fma_f16 v164, 0x3b76, v167, v169
	v_fmac_f16_e32 v98, 0x3b76, v25
	v_mul_f16_e64 v166, 0xb836, v160
	v_fma_f16 v168, v167, 0x3b76, -v169
	v_add_f16_e64 v102, v170, v102
	v_add_f16_e64 v145, v164, v145
	v_mul_f16_e64 v164, 0xb836, v165
	v_add_f16_e32 v98, v98, v100
	v_fma_f16 v100, v25, 0xbacd, -v166
	v_add_f16_e64 v96, v168, v96
	v_mul_f16_e64 v168, 0x3bf7, v160
	v_fmac_f16_e64 v166, 0xbacd, v25
	v_fma_f16 v169, 0xbacd, v167, v164
	v_add_f16_e64 v100, v100, v148
	v_fma_f16 v148, v167, 0xbacd, -v164
	v_fma_f16 v164, v25, 0x2de8, -v168
	v_add_f16_e64 v143, v166, v143
	v_mul_f16_e64 v166, 0x3bf7, v165
	v_add_f16_e64 v151, v169, v151
	v_add_f16_e64 v146, v148, v146
	;; [unrolled: 1-line block ×3, first 2 shown]
	v_mul_f16_e64 v149, 0xb964, v160
	v_mul_f16_e64 v164, 0xb964, v165
	v_fma_f16 v169, 0x2de8, v167, v166
	v_fma_f16 v166, v167, 0x2de8, -v166
	v_fmac_f16_e64 v168, 0x2de8, v25
	v_fma_f16 v170, v25, 0x39e9, -v149
	v_fma_f16 v171, 0x39e9, v167, v164
	v_fmac_f16_e64 v149, 0x39e9, v25
	v_add_f16_e64 v150, v166, v150
	v_fma_f16 v164, v167, 0x39e9, -v164
	v_mul_f16_e64 v160, 0xb1e1, v160
	v_pk_add_f16 v166, v26, v27 neg_lo:[0,1] neg_hi:[0,1]
	v_add_f16_e64 v147, v168, v147
	v_mul_f16_e64 v168, 0xb1e1, v165
	v_add_f16_e64 v149, v149, v152
	v_add_f16_e64 v152, v164, v153
	v_fma_f16 v153, v25, 0xbbdd, -v160
	v_lshrrev_b32_e32 v164, 16, v166
	v_pk_add_f16 v26, v27, v26
	v_add_f16_e64 v154, v169, v154
	v_fma_f16 v169, 0xbbdd, v167, v168
	v_fmac_f16_e64 v160, 0xbbdd, v25
	v_add_f16_e64 v27, v153, v157
	v_mul_f16_e64 v153, 0xb836, v164
	v_pk_mul_f16 v157, 0xbacd3722, v26
	v_add_f16_e64 v156, v170, v156
	v_add_f16_e64 v28, v169, v28
	;; [unrolled: 1-line block ×3, first 2 shown]
	v_fma_f16 v160, v167, 0xbbdd, -v168
	v_fma_f16 v167, v26, 0xbacd, -v153
	v_fmac_f16_e64 v153, 0xbacd, v26
	v_pk_fma_f16 v168, 0x3b29b836, v166, v157 op_sel:[0,0,1] op_sel_hi:[1,1,0] neg_lo:[0,1,0] neg_hi:[0,1,0]
	v_pk_fma_f16 v157, 0x3b29b836, v166, v157 op_sel:[0,0,1] op_sel_hi:[1,1,0]
	v_lshrrev_b32_e32 v169, 16, v26
	v_mul_f16_e64 v170, 0x3b29, v166
	v_add_f16_e64 v95, v160, v95
	v_add_f16_e64 v97, v167, v97
	v_bfi_b32 v160, 0xffff, v157, v168
	v_add_f16_e64 v31, v153, v31
	v_fma_f16 v153, 0x3722, v169, v170
	v_mul_f16_e64 v167, 0xbbf7, v164
	v_add_f16_e64 v155, v171, v155
	v_mul_f16_e64 v171, 0xbbf7, v166
	v_pk_add_f16 v101, v160, v101
	v_fma_f16 v160, v169, 0x3722, -v170
	v_add_f16_e64 v99, v153, v99
	v_fma_f16 v153, v26, 0x2de8, -v167
	v_mul_f16_e64 v172, 0x3a62, v164
	v_fma_f16 v170, 0x2de8, v169, v171
	v_add_f16_e64 v103, v160, v103
	v_mul_f16_e64 v160, 0x3a62, v166
	v_add_f16_e64 v102, v153, v102
	v_fma_f16 v153, v26, 0xb8d2, -v172
	v_fmac_f16_e64 v167, 0x2de8, v26
	v_add_f16_e64 v145, v170, v145
	v_mul_f16_e64 v170, 0xb5c8, v164
	v_fmac_f16_e64 v172, 0xb8d2, v26
	v_add_f16_e64 v100, v153, v100
	v_fma_f16 v153, 0xb8d2, v169, v160
	v_fma_f16 v160, v169, 0xb8d2, -v160
	v_mul_f16_e64 v173, 0xb5c8, v166
	v_add_f16_e64 v98, v167, v98
	v_fma_f16 v167, v169, 0x2de8, -v171
	v_fma_f16 v171, v26, 0x3b76, -v170
	v_add_f16_e64 v151, v153, v151
	v_add_f16_e64 v143, v172, v143
	;; [unrolled: 1-line block ×3, first 2 shown]
	v_fma_f16 v153, 0x3b76, v169, v173
	v_mul_f16_e64 v160, 0xb1e1, v164
	v_fmac_f16_e64 v170, 0x3b76, v26
	v_mul_f16_e64 v172, 0xb1e1, v166
	v_lshrrev_b32_e32 v94, 16, v93
	v_add_f16_e64 v153, v153, v154
	v_fma_f16 v154, v26, 0xbbdd, -v160
	v_add_f16_e64 v147, v170, v147
	v_fma_f16 v170, 0xbbdd, v169, v172
	v_fmac_f16_e64 v160, 0xbbdd, v26
	v_pk_add_f16 v23, v24, v23
	v_add_f16_e64 v154, v154, v156
	v_mul_f16_e64 v156, 0x3964, v164
	v_add_f16_e64 v92, v170, v155
	v_fma_f16 v155, v169, 0xbbdd, -v172
	v_mul_f16_e64 v164, 0x3964, v166
	v_add_f16_e64 v149, v160, v149
	v_fma_f16 v160, v26, 0x39e9, -v156
	v_fmac_f16_e64 v156, 0x39e9, v26
	v_add_f16_e64 v152, v155, v152
	v_fma_f16 v155, 0x39e9, v169, v164
	v_add_f16_e64 v24, v162, v91
	v_mul_f16_e32 v91, 0xb1e1, v94
	v_add_f16_e64 v27, v160, v27
	v_pk_mul_f16 v160, 0xbbdd3b76, v23
	v_add_f16_e64 v28, v155, v28
	v_add_f16_e64 v155, v156, v159
	v_fma_f16 v156, v169, 0x39e9, -v164
	v_add_f16_e64 v24, v163, v24
	v_fma_f16 v159, v23, 0xbbdd, -v91
	v_fmac_f16_e32 v91, 0xbbdd, v23
	v_mul_f16_e64 v163, 0xb836, v94
	v_add_f16_e64 v95, v156, v95
	v_add_f16_e64 v24, v161, v24
	v_pk_fma_f16 v156, 0x35c8b1e1, v93, v160 op_sel:[0,0,1] op_sel_hi:[1,1,0]
	v_add_f16_e32 v31, v91, v31
	v_pk_fma_f16 v91, 0x35c8b1e1, v93, v160 op_sel:[0,0,1] op_sel_hi:[1,1,0] neg_lo:[0,1,0] neg_hi:[0,1,0]
	v_add_f16_e64 v97, v159, v97
	v_add_f16_e64 v24, v168, v24
	v_lshrrev_b32_e32 v159, 16, v23
	v_mul_f16_e64 v161, 0x35c8, v93
	v_bfi_b32 v156, 0xffff, v156, v91
	v_add_f16_e64 v148, v171, v148
	v_add_f16_e32 v24, v91, v24
	v_mul_f16_e64 v164, 0xbacd, v159
	v_fma_f16 v91, 0x3b76, v159, v161
	v_fma_f16 v161, v159, 0x3b76, -v161
	v_pk_add_f16 v101, v156, v101
	v_fma_f16 v156, v23, 0xbacd, -v163
	v_fma_f16 v171, v169, 0x3b76, -v173
	v_add_f16_e32 v91, v91, v99
	v_add_f16_e64 v99, v161, v103
	v_mul_f16_e32 v103, 0x3964, v94
	v_add_f16_e64 v102, v156, v102
	v_fma_f16 v156, 0xb836, v93, v164
	v_fmac_f16_e64 v163, 0xbacd, v23
	v_mul_f16_e64 v169, 0x3964, v93
	v_fma_f16 v168, v23, 0x39e9, -v103
	v_fmac_f16_e32 v103, 0x39e9, v23
	v_add_f16_e64 v145, v156, v145
	v_mul_f16_e64 v156, 0xba62, v94
	v_add_f16_e64 v98, v163, v98
	v_add_f16_e64 v100, v168, v100
	v_fma_f16 v163, 0x39e9, v159, v169
	v_fma_f16 v168, v159, 0x39e9, -v169
	v_fma_f16 v169, v23, 0xb8d2, -v156
	v_mul_f16_e64 v170, 0xba62, v93
	v_add_f16_e64 v103, v103, v143
	v_add_f16_e64 v151, v163, v151
	v_add_f16_e64 v143, v168, v146
	v_add_f16_e64 v146, v169, v148
	v_fma_f16 v148, 0xb8d2, v159, v170
	v_mul_f16_e64 v163, 0x3b29, v94
	v_mul_f16_e64 v169, 0x3b29, v93
	v_pk_mul_f16 v33, 0x3b76, v33 op_sel_hi:[0,1]
	v_pk_mul_f16 v34, 0xbacd, v34 op_sel_hi:[0,1]
	v_add_f16_e64 v148, v148, v153
	v_fma_f16 v153, v23, 0x3722, -v163
	v_fmac_f16_e64 v156, 0xb8d2, v23
	v_pk_mul_f16 v29, 0x39e9, v29 op_sel_hi:[0,1]
	v_mul_f16_e32 v94, 0xbbb2, v94
	v_pk_mul_f16 v30, 0xb8d2, v30 op_sel_hi:[0,1]
	v_add_f16_e64 v153, v153, v154
	v_fma_f16 v154, v159, 0x3722, -v169
	v_add_f16_e64 v147, v156, v147
	v_fma_f16 v156, 0x3722, v159, v169
	v_pk_mul_f16 v25, 0x3722, v25 op_sel_hi:[0,1]
	v_pk_mul_f16 v26, 0xb461, v26 op_sel_hi:[0,1]
	v_add_f16_e64 v152, v154, v152
	v_pk_fma_f16 v154, 0xb1e1, v88, v89 op_sel:[0,0,1] op_sel_hi:[0,1,0] neg_lo:[0,1,0] neg_hi:[0,1,0]
	v_pk_fma_f16 v88, 0xb1e1, v88, v89 op_sel:[0,0,1] op_sel_hi:[0,1,0]
	v_add_f16_e64 v92, v156, v92
	v_fma_f16 v89, v23, 0xb461, -v94
	v_mul_f16_e64 v156, 0xbbb2, v93
	v_pk_add_f16 v154, v21, v154 op_sel:[1,0] op_sel_hi:[0,1]
	v_pk_add_f16 v21, v21, v88 op_sel:[1,0] op_sel_hi:[0,1]
	v_pk_fma_f16 v88, 0x35c8, v90, v33 op_sel:[0,0,1] op_sel_hi:[0,1,0] neg_lo:[0,1,0] neg_hi:[0,1,0]
	v_pk_fma_f16 v33, 0x35c8, v90, v33 op_sel:[0,0,1] op_sel_hi:[0,1,0]
	v_add_f16_e32 v27, v89, v27
	v_fma_f16 v89, 0xb461, v159, v156
	v_mul_f16_e64 v161, 0xb836, v93
	v_pk_add_f16 v88, v88, v154
	v_pk_add_f16 v21, v33, v21
	v_pk_fma_f16 v33, 0xb836, v36, v34 op_sel:[0,0,1] op_sel_hi:[0,1,0] neg_lo:[0,1,0] neg_hi:[0,1,0]
	v_pk_fma_f16 v34, 0xb836, v36, v34 op_sel:[0,0,1] op_sel_hi:[0,1,0]
	v_fmac_f16_e64 v163, 0x3722, v23
	v_add_f16_e32 v28, v89, v28
	v_fmac_f16_e32 v94, 0xb461, v23
	v_pk_add_f16 v33, v33, v88
	v_pk_add_f16 v21, v34, v21
	v_pk_fma_f16 v34, 0x3964, v35, v29 op_sel:[0,0,1] op_sel_hi:[0,1,0] neg_lo:[0,1,0] neg_hi:[0,1,0]
	v_pk_fma_f16 v29, 0x3964, v35, v29 op_sel:[0,0,1] op_sel_hi:[0,1,0]
	v_pk_mul_f16 v23, 0x2de8, v23 op_sel_hi:[0,1]
	v_pk_mul_f16 v162, 0x35c8b1e1, v93
	v_pack_b32_f16 v27, v27, v28
	v_pk_add_f16 v33, v34, v33
	v_pk_add_f16 v21, v29, v21
	v_pk_fma_f16 v29, 0xba62, v32, v30 op_sel:[0,0,1] op_sel_hi:[0,1,0] neg_lo:[0,1,0] neg_hi:[0,1,0]
	v_pk_fma_f16 v30, 0xba62, v32, v30 op_sel:[0,0,1] op_sel_hi:[0,1,0]
	v_bfi_b32 v28, 0xffff, v161, v158
	v_pk_add_f16 v89, v157, v158
	v_fma_f16 v36, v159, 0xb461, -v156
	v_pk_add_f16 v29, v29, v33
	v_pk_add_f16 v21, v30, v21
	v_pk_fma_f16 v30, 0x3b29, v165, v25 op_sel:[0,0,1] op_sel_hi:[0,1,0] neg_lo:[0,1,0] neg_hi:[0,1,0]
	v_pk_fma_f16 v25, 0x3b29, v165, v25 op_sel:[0,0,1] op_sel_hi:[0,1,0]
	v_pk_add_f16 v28, v164, v28 neg_lo:[0,1] neg_hi:[0,1]
	v_add_f16_e64 v150, v171, v150
	v_fma_f16 v168, v159, 0xb8d2, -v170
	v_pk_add_f16 v29, v30, v29
	v_pk_add_f16 v21, v25, v21
	v_pk_fma_f16 v25, 0xbbb2, v166, v26 op_sel:[0,0,1] op_sel_hi:[0,1,0] neg_lo:[0,1,0] neg_hi:[0,1,0]
	v_pk_fma_f16 v26, 0xbbb2, v166, v26 op_sel:[0,0,1] op_sel_hi:[0,1,0]
	v_alignbit_b32 v34, v91, v101, 16
	v_pack_b32_f16 v33, v97, v101
	ds_store_2addr_b32 v144, v22, v27 offset1:7
	v_pk_add_f16 v25, v25, v29
	v_pk_add_f16 v21, v26, v21
	v_pk_fma_f16 v26, 0x3bf7, v93, v23 op_sel:[0,0,1] op_sel_hi:[0,1,0] neg_lo:[0,1,0] neg_hi:[0,1,0]
	v_pk_fma_f16 v23, 0x3bf7, v93, v23 op_sel:[0,0,1] op_sel_hi:[0,1,0]
	v_add_f16_e32 v32, v36, v95
	v_pack_b32_f16 v36, v100, v151
	v_pack_b32_f16 v30, v102, v145
	v_pk_add_f16 v25, v26, v25
	v_pk_add_f16 v21, v23, v21
	v_pack_b32_f16 v23, v167, v160
	v_bfi_b32 v26, 0xffff, v96, v162
	v_pack_b32_f16 v88, v153, v92
	v_pack_b32_f16 v29, v146, v148
	v_alignbit_b32 v22, v25, v21, 16
	v_alignbit_b32 v21, v21, v25, 16
	v_pk_add_f16 v23, v23, v26
	v_bfi_b32 v25, 0xffff, v28, v89
	v_add_f16_e64 v149, v163, v149
	v_add_f16_e64 v35, v94, v155
	;; [unrolled: 1-line block ×3, first 2 shown]
	ds_store_2addr_b32 v144, v33, v34 offset0:1 offset1:2
	ds_store_2addr_b32 v144, v30, v36 offset0:3 offset1:4
	;; [unrolled: 1-line block ×4, first 2 shown]
	v_pk_add_f16 v21, v25, v23
	v_pack_b32_f16 v22, v149, v152
	v_pack_b32_f16 v23, v35, v32
	;; [unrolled: 1-line block ×4, first 2 shown]
	v_alignbit_b32 v27, v99, v21, 16
	v_pack_b32_f16 v21, v98, v21
	v_pack_b32_f16 v24, v31, v24
	ds_store_2addr_b32 v144, v23, v22 offset0:10 offset1:11
	ds_store_2addr_b32 v144, v26, v25 offset0:12 offset1:13
	;; [unrolled: 1-line block ×3, first 2 shown]
	ds_store_b32 v144, v24 offset:64
	s_and_saveexec_b32 s2, vcc_lo
	s_cbranch_execz .LBB0_7
; %bb.6:
	v_mul_f16_e32 v22, 0xbacd, v55
	v_mul_f16_e32 v24, 0x3722, v38
	v_mul_f16_e32 v26, 0x2de8, v56
	v_mul_f16_e32 v27, 0xb8d2, v57
	v_mul_f16_e32 v28, 0xb836, v72
	v_fmamk_f16 v23, v14, 0x3836, v22
	v_fmamk_f16 v25, v42, 0xbb29, v24
	v_mul_f16_e32 v29, 0x3b76, v58
	v_mul_f16_e32 v31, 0x3b29, v76
	v_fmamk_f16 v30, v40, 0xbacd, v28
	v_add_f16_e32 v23, v23, v54
	v_mul_f16_e32 v97, 0xbbdd, v60
	v_mul_f16_e32 v99, 0xbbf7, v77
	v_fmamk_f16 v98, v53, 0x3722, v31
	v_add_f16_e32 v30, v30, v4
	v_add_f16_e32 v23, v25, v23
	v_fmamk_f16 v25, v39, 0x3bf7, v26
	v_mul_f16_e32 v100, 0x39e9, v61
	v_mul_f16_e32 v101, 0x3a62, v80
	v_add_f16_e32 v30, v98, v30
	v_fmamk_f16 v98, v43, 0x2de8, v99
	v_add_f16_e32 v23, v25, v23
	v_fmamk_f16 v25, v41, 0xba62, v27
	v_mul_f16_e32 v103, 0xb5c8, v79
	v_fmac_f16_e32 v22, 0xb836, v14
	v_add_f16_e32 v30, v98, v30
	v_fmamk_f16 v98, v46, 0xb8d2, v101
	v_add_f16_e32 v23, v25, v23
	v_fmamk_f16 v25, v44, 0x35c8, v29
	v_add_f16_e32 v22, v22, v54
	v_fmac_f16_e32 v24, 0x3b29, v42
	v_mul_f16_e64 v146, 0xb461, v62
	v_mul_f16_e64 v147, 0x3964, v85
	v_add_f16_e32 v23, v25, v23
	v_fmamk_f16 v25, v45, 0x31e1, v97
	v_add_f16_e32 v22, v24, v22
	v_fmac_f16_e32 v26, 0xbbf7, v39
	v_fma_f16 v24, 0x3bb2, v49, v146
	v_mul_f16_e64 v148, 0xbbb2, v86
	v_add_f16_e32 v23, v25, v23
	v_fmamk_f16 v25, v50, 0xb964, v100
	v_add_f16_e32 v26, v26, v22
	v_fmac_f16_e32 v27, 0x3a62, v41
	v_fmac_f16_e32 v29, 0xb5c8, v44
	v_mul_f16_e64 v149, 0xba62, v14
	v_add_f16_e32 v23, v25, v23
	v_add_f16_e32 v25, v98, v30
	v_fmamk_f16 v30, v47, 0x3b76, v103
	v_mul_f16_e32 v98, 0xb1e1, v82
	v_add_f16_e32 v26, v27, v26
	v_add_f16_e32 v22, v24, v23
	v_fma_f16 v24, v40, 0xbacd, -v28
	v_add_f16_e32 v25, v30, v25
	v_fmamk_f16 v30, v48, 0xbbdd, v98
	v_fma_f16 v27, v53, 0x3722, -v31
	v_mul_f16_e64 v150, 0x3bb2, v42
	v_add_f16_e32 v24, v24, v4
	v_fmac_f16_e32 v97, 0xb1e1, v45
	v_add_f16_e32 v25, v30, v25
	v_fma_f16 v30, 0x39e9, v51, v147
	v_fma_f16 v28, 0xb461, v38, v150
	v_add_f16_e32 v24, v27, v24
	v_fma_f16 v27, v43, 0x2de8, -v99
	v_mul_f16_e32 v99, 0xb5c8, v39
	v_add_f16_e32 v23, v30, v25
	v_fma_f16 v25, 0xb461, v52, v148
	v_fmac_f16_e32 v100, 0x3964, v50
	v_add_f16_e32 v24, v27, v24
	v_fma_f16 v27, v46, 0xb8d2, -v101
	v_mul_f16_e32 v101, 0x3bf7, v44
	v_add_f16_e32 v23, v25, v23
	v_add_f16_e32 v25, v29, v26
	v_fma_f16 v26, 0xb8d2, v55, v149
	v_add_f16_e32 v24, v27, v24
	v_fma_f16 v27, v47, 0x3b76, -v103
	v_fmac_f16_e64 v146, 0xbbb2, v49
	v_add_f16_e32 v25, v97, v25
	v_add_f16_e32 v26, v26, v54
	v_mul_f16_e32 v97, 0xb836, v41
	v_add_f16_e32 v24, v27, v24
	v_fma_f16 v27, v48, 0xbbdd, -v98
	v_mul_f16_e32 v98, 0xb964, v45
	v_add_f16_e32 v26, v28, v26
	v_fmamk_f16 v28, v56, 0x3b76, v99
	v_add_f16_e32 v25, v100, v25
	v_add_f16_e32 v24, v27, v24
	v_fma_f16 v27, v51, 0x39e9, -v147
	v_mul_f16_e32 v100, 0xb1e1, v50
	v_add_f16_e32 v26, v28, v26
	v_fmamk_f16 v28, v57, 0xbacd, v97
	v_mul_f16_e32 v103, 0xba62, v72
	v_add_f16_e32 v27, v27, v24
	v_fma_f16 v29, v52, 0xb461, -v148
	v_add_f16_e64 v24, v146, v25
	v_add_f16_e32 v26, v28, v26
	v_fmamk_f16 v28, v58, 0x2de8, v101
	v_fma_f16 v30, v40, 0xb8d2, -v103
	v_mul_f16_e64 v146, 0x3bb2, v76
	v_mul_f16_e64 v147, 0xbbb2, v14
	v_add_f16_e32 v25, v29, v27
	v_add_f16_e32 v26, v28, v26
	v_fmamk_f16 v28, v60, 0x39e9, v98
	v_add_f16_e32 v27, v30, v4
	v_mul_f16_e64 v148, 0xb5c8, v77
	v_fma_f16 v29, 0xb461, v55, v147
	v_mul_f16_e64 v152, 0x3836, v42
	v_add_f16_e32 v26, v28, v26
	v_fmamk_f16 v28, v61, 0xbbdd, v100
	v_mul_f16_e64 v153, 0xb836, v80
	v_add_f16_e32 v29, v29, v54
	v_fma_f16 v30, 0xbacd, v38, v152
	v_mul_f16_e64 v154, 0x3964, v39
	v_add_f16_e32 v26, v28, v26
	v_fma_f16 v28, v53, 0xb461, -v146
	v_mul_f16_e64 v155, 0x3bf7, v79
	v_add_f16_e32 v29, v30, v29
	v_fma_f16 v30, 0x39e9, v56, v154
	v_mul_f16_e64 v156, 0xbb29, v41
	v_add_f16_e32 v27, v28, v27
	v_fma_f16 v28, v43, 0x3b76, -v148
	;; [unrolled: 6-line block ×4, first 2 shown]
	v_mul_f16_e64 v161, 0xb5c8, v50
	v_mul_f16_e64 v162, 0xbbb2, v72
	;; [unrolled: 1-line block ×4, first 2 shown]
	v_add_f16_e32 v27, v28, v27
	v_fma_f16 v28, v48, 0x39e9, -v157
	v_mul_f16_e64 v166, 0x3964, v77
	v_mul_f16_e64 v169, 0xb1e1, v42
	v_fma_f16 v168, 0x2de8, v55, v165
	v_mul_f16_e64 v170, 0xbb29, v80
	v_add_f16_e32 v27, v28, v27
	v_add_f16_e32 v28, v30, v29
	v_fma_f16 v29, 0x2de8, v60, v159
	v_fma_f16 v30, v51, 0xbbdd, -v160
	v_add_f16_e64 v168, v168, v54
	v_fma_f16 v171, 0xbbdd, v38, v169
	v_mul_f16_e64 v172, 0x3bb2, v39
	v_add_f16_e32 v28, v29, v28
	v_fma_f16 v29, 0x3b76, v61, v161
	v_add_f16_e32 v27, v30, v27
	v_fma_f16 v30, v40, 0xb461, -v162
	v_mul_f16_e64 v173, 0xb1e1, v79
	v_add_f16_e64 v168, v171, v168
	v_add_f16_e32 v28, v29, v28
	v_fma_f16 v171, 0xb461, v56, v172
	v_add_f16_e32 v29, v30, v4
	v_fma_f16 v30, v53, 0xbacd, -v164
	v_mul_f16_e64 v174, 0x35c8, v41
	v_mul_f16_e64 v175, 0x3bf7, v82
	v_add_f16_e64 v168, v171, v168
	v_mul_f16_e64 v176, 0xbb29, v44
	v_add_f16_e32 v29, v30, v29
	v_fma_f16 v30, v43, 0x39e9, -v166
	v_fma_f16 v171, 0x3b76, v57, v174
	v_mul_f16_e64 v167, 0xba62, v49
	v_mul_f16_e64 v177, 0xb5c8, v85
	;; [unrolled: 1-line block ×3, first 2 shown]
	v_add_f16_e32 v29, v30, v29
	v_fma_f16 v30, v46, 0x3722, -v170
	v_add_f16_e64 v168, v171, v168
	v_fma_f16 v171, 0x3722, v58, v176
	v_mul_f16_e64 v179, 0xba62, v86
	v_mul_f16_e64 v180, 0x3a62, v50
	v_add_f16_e32 v29, v30, v29
	v_fma_f16 v30, v47, 0xbbdd, -v173
	v_add_f16_e64 v168, v171, v168
	v_fma_f16 v171, 0xbacd, v60, v178
	v_fma_f16 v181, 0xb8d2, v62, v167
	v_fma_f16 v182, v52, 0xb8d2, -v179
	v_add_f16_e32 v29, v30, v29
	v_fma_f16 v30, v48, 0x2de8, -v175
	v_add_f16_e64 v168, v171, v168
	v_fma_f16 v171, 0xb8d2, v61, v180
	v_mul_f16_e64 v183, 0xb1e1, v76
	v_mul_f16_e64 v186, 0xba62, v42
	v_add_f16_e32 v29, v30, v29
	v_fma_f16 v30, v51, 0x3b76, -v177
	v_add_f16_e64 v168, v171, v168
	v_mul_f16_e64 v171, 0xbb29, v14
	v_fma_f16 v187, v53, 0xbbdd, -v183
	v_mul_f16_e64 v188, 0x3bb2, v77
	v_add_f16_e32 v30, v30, v29
	v_add_f16_e64 v29, v181, v28
	v_mul_f16_e64 v181, 0xbbf7, v72
	v_fma_f16 v185, 0x3722, v55, v171
	v_fma_f16 v189, 0xb8d2, v38, v186
	v_add_f16_e64 v30, v182, v30
	v_mul_f16_e64 v190, 0x31e1, v39
	v_fma_f16 v182, v40, 0x2de8, -v181
	v_add_f16_e64 v185, v185, v54
	v_mul_f16_e64 v191, 0x35c8, v80
	v_mul_f16_e64 v192, 0x3bb2, v41
	;; [unrolled: 1-line block ×3, first 2 shown]
	v_add_f16_e64 v182, v182, v4
	v_add_f16_e64 v185, v189, v185
	v_fma_f16 v189, 0xbbdd, v56, v190
	v_mul_f16_e64 v194, 0x3964, v44
	v_mul_f16_e64 v195, 0xb836, v82
	v_add_f16_e64 v182, v187, v182
	v_fma_f16 v187, v43, 0xb461, -v188
	v_add_f16_e64 v185, v189, v185
	v_fma_f16 v189, 0xb461, v57, v192
	v_mul_f16_e64 v196, 0xb5c8, v45
	v_mul_f16_e64 v197, 0x3a62, v85
	v_add_f16_e64 v182, v187, v182
	v_fma_f16 v187, v46, 0x3b76, -v191
	v_add_f16_e64 v185, v189, v185
	v_fma_f16 v189, 0x39e9, v58, v194
	v_mul_f16_e32 v28, 0x39e9, v62
	v_mul_f16_e64 v198, 0xbbf7, v50
	v_add_f16_e64 v182, v187, v182
	v_fma_f16 v187, v47, 0x3722, -v193
	v_add_f16_e64 v185, v189, v185
	v_fma_f16 v189, 0x3b76, v60, v196
	v_mul_f16_e64 v199, 0x3964, v86
	v_fma_f16 v184, 0x3964, v49, v28
	v_add_f16_e64 v182, v187, v182
	v_fma_f16 v187, v48, 0xbacd, -v195
	v_add_f16_e64 v185, v189, v185
	v_fma_f16 v189, 0x2de8, v61, v198
	v_mul_f16_e64 v200, 0xb836, v49
	v_mul_f16_e64 v201, 0xb964, v72
	v_add_f16_e64 v182, v187, v182
	v_fma_f16 v187, v51, 0xb8d2, -v197
	v_mul_f16_e32 v88, 0x3b76, v55
	v_add_f16_e64 v185, v189, v185
	v_fma_f16 v189, 0xbacd, v62, v200
	v_add_f16_e64 v72, v184, v168
	v_add_f16_e64 v182, v187, v182
	v_fma_f16 v187, v52, 0x39e9, -v199
	v_mul_f16_e32 v76, 0xbbf7, v76
	v_mul_f16_e32 v89, 0x39e9, v38
	v_add_f16_e64 v184, v189, v185
	v_mul_f16_e32 v77, 0xba62, v77
	v_add_f16_e64 v168, v187, v182
	v_fma_f16 v182, v40, 0x39e9, -v201
	v_fma_f16 v189, v53, 0x2de8, -v76
	v_add_f16_e32 v69, v69, v88
	v_mul_f16_e32 v36, 0x3b76, v40
	v_mul_f16_e32 v91, 0x3722, v56
	v_add_f16_e64 v182, v182, v4
	v_mul_f16_e32 v80, 0xb1e1, v80
	v_add_f16_e32 v69, v69, v54
	v_add_f16_e32 v70, v70, v89
	v_alignbit_b32 v32, v87, v87, 16
	v_add_f16_e64 v182, v189, v182
	v_fma_f16 v189, v43, 0xb8d2, -v77
	v_mul_f16_e32 v87, 0x39e9, v53
	v_mul_f16_e32 v93, 0x2de8, v57
	;; [unrolled: 1-line block ×3, first 2 shown]
	v_add_f16_e32 v69, v70, v69
	v_add_f16_e64 v182, v189, v182
	v_fma_f16 v189, v46, 0xbbdd, -v80
	v_add_f16_e32 v70, v71, v91
	v_sub_f16_e32 v36, v36, v63
	v_mul_f16_e32 v90, 0x3722, v43
	v_mul_f16_e32 v94, 0xb461, v58
	v_add_f16_e64 v182, v189, v182
	v_fma_f16 v189, v47, 0xbacd, -v79
	v_mul_f16_e32 v82, 0x3bb2, v82
	v_add_f16_e32 v69, v70, v69
	v_add_f16_e32 v70, v73, v93
	;; [unrolled: 1-line block ×3, first 2 shown]
	v_sub_f16_e32 v64, v87, v64
	v_mul_f16_e32 v92, 0x2de8, v46
	v_mul_f16_e32 v95, 0xb8d2, v60
	v_add_f16_e64 v63, v189, v182
	v_fma_f16 v91, v48, 0xb461, -v82
	v_mul_f16_e32 v73, 0x3b29, v85
	v_add_f16_e32 v69, v70, v69
	v_add_f16_e32 v70, v74, v94
	;; [unrolled: 1-line block ×3, first 2 shown]
	v_sub_f16_e32 v64, v90, v65
	v_mul_f16_e32 v35, 0xb461, v47
	v_mul_f16_e32 v96, 0xbacd, v61
	v_add_f16_e32 v63, v91, v63
	v_fma_f16 v65, v51, 0x3722, -v73
	v_mul_f16_e32 v74, 0x35c8, v86
	v_add_f16_e32 v69, v70, v69
	v_add_f16_e32 v70, v84, v95
	;; [unrolled: 1-line block ×3, first 2 shown]
	v_sub_f16_e32 v64, v92, v67
	v_fma_f16 v67, v55, 0xb8d2, -v149
	v_mul_f16_e32 v33, 0xb8d2, v48
	v_add_f16_e32 v63, v65, v63
	v_fma_f16 v65, v52, 0x3b76, -v74
	v_add_f16_e32 v69, v70, v69
	v_add_f16_e32 v36, v64, v36
	v_sub_f16_e32 v35, v35, v66
	v_add_f16_e32 v64, v83, v96
	v_add_f16_e32 v66, v67, v54
	v_fma_f16 v67, v38, 0xb461, -v150
	v_alignbit_b32 v21, v4, v4, 16
	v_mul_f16_e32 v34, 0xbacd, v51
	v_add_f16_e32 v63, v65, v63
	v_add_f16_e32 v35, v35, v36
	v_sub_f16_e32 v33, v33, v68
	v_add_f16_e32 v36, v64, v69
	v_add_f16_e32 v64, v67, v66
	v_fma_f16 v65, v56, 0x3b76, -v99
	v_sub_f16_e32 v34, v34, v78
	v_add_f16_e32 v33, v33, v35
	v_pk_add_f16 v5, v5, v21 op_sel:[0,1] op_sel_hi:[1,0]
	v_fmac_f16_e32 v103, 0xb8d2, v40
	v_add_f16_e32 v35, v65, v64
	v_fma_f16 v64, v57, 0xbacd, -v97
	v_add_f16_e32 v33, v34, v33
	v_pk_add_f16 v5, v32, v5
	v_fma_f16 v34, v58, 0x2de8, -v101
	v_mul_f16_e32 v102, 0xbbdd, v52
	v_add_f16_e32 v32, v64, v35
	v_add_f16_e32 v64, v103, v4
	v_pk_add_f16 v5, v15, v5
	v_fmac_f16_e64 v146, 0xb461, v53
	v_sub_f16_e32 v35, v102, v75
	v_add_f16_e32 v15, v34, v32
	v_fma_f16 v32, v60, 0x39e9, -v98
	v_pk_add_f16 v5, v12, v5
	v_add_f16_e64 v34, v146, v64
	v_fmac_f16_e64 v148, 0x3b76, v43
	v_fmac_f16_e64 v162, 0xb461, v40
	v_add_f16_e32 v12, v32, v15
	v_fma_f16 v15, v61, 0xbbdd, -v100
	v_fma_f16 v32, v55, 0xb461, -v147
	v_pk_add_f16 v5, v13, v5
	v_mul_f16_e64 v151, 0x3b29, v49
	v_add_f16_e32 v33, v35, v33
	v_add_f16_e32 v12, v15, v12
	;; [unrolled: 1-line block ×3, first 2 shown]
	v_fma_f16 v15, v38, 0xbacd, -v152
	v_add_f16_e64 v34, v148, v34
	v_fmac_f16_e64 v153, 0xbacd, v46
	v_add_f16_e64 v35, v162, v4
	v_fmac_f16_e64 v164, 0xbacd, v53
	v_add_f16_e32 v13, v15, v13
	v_fma_f16 v15, v56, 0x39e9, -v154
	v_add_f16_e64 v32, v153, v34
	v_fma_f16 v34, v62, 0x3722, -v151
	v_add_f16_e64 v35, v164, v35
	v_fmac_f16_e64 v166, 0x39e9, v43
	v_add_f16_e32 v13, v15, v13
	v_fma_f16 v15, v57, 0x3722, -v156
	v_add_f16_e32 v12, v34, v12
	v_fma_f16 v64, v38, 0xbbdd, -v169
	v_add_f16_e64 v34, v166, v35
	v_fma_f16 v35, v55, 0x2de8, -v165
	v_add_f16_e32 v13, v15, v13
	v_fma_f16 v15, v58, 0xbbdd, -v158
	v_fma_f16 v55, v55, 0x3722, -v171
	v_pk_add_f16 v5, v10, v5
	v_add_f16_e32 v35, v35, v54
	v_pk_mul_f16 v185, 0x39e93722, v40
	v_add_f16_e32 v13, v15, v13
	v_fma_f16 v15, v60, 0x2de8, -v159
	v_add_f16_e32 v54, v55, v54
	v_fma_f16 v55, v38, 0xb8d2, -v186
	;; [unrolled: 2-line block ×5, first 2 shown]
	v_fmac_f16_e64 v181, 0x2de8, v40
	v_pk_add_f16 v5, v11, v5
	v_add_f16_e32 v13, v15, v13
	v_fma_f16 v15, v62, 0xb8d2, -v167
	v_add_f16_e32 v54, v55, v54
	v_fma_f16 v55, v57, 0xb461, -v192
	v_pk_mul_f16 v187, 0xba62bbf7, v42
	v_fmac_f16_e64 v183, 0xbbdd, v53
	v_add_f16_e32 v13, v15, v13
	v_add_f16_e32 v15, v64, v35
	v_fma_f16 v35, v57, 0x3b76, -v174
	v_add_f16_e32 v54, v55, v54
	v_fma_f16 v55, v58, 0x39e9, -v194
	v_add_f16_e64 v64, v181, v4
	v_fma_f16 v56, v60, 0xbacd, -v178
	v_add_f16_e32 v15, v35, v15
	v_fma_f16 v35, v58, 0x3722, -v176
	v_add_f16_e32 v54, v55, v54
	v_fma_f16 v55, v60, 0x3b76, -v196
	v_pk_fma_f16 v10, 0xbb29b964, v14, v185 op_sel:[0,0,1] op_sel_hi:[1,1,0] neg_lo:[0,1,0] neg_hi:[0,1,0]
	v_pk_add_f16 v5, v8, v5
	v_add_f16_e32 v15, v35, v15
	v_pk_mul_f16 v202, 0xb8d2bbdd, v43
	v_add_f16_e64 v35, v183, v64
	v_pk_fma_f16 v64, 0xbb29b964, v14, v185 op_sel:[0,0,1] op_sel_hi:[1,1,0]
	v_add_f16_e32 v54, v55, v54
	v_fma_f16 v55, v61, 0x2de8, -v198
	v_add_f16_e32 v15, v56, v15
	v_fma_f16 v56, v61, 0xb8d2, -v180
	v_pk_fma_f16 v61, 0xb8d22de8, v38, v187 neg_lo:[0,0,1] neg_hi:[0,0,1]
	v_add_f16_e32 v69, v10, v21
	v_pk_add_f16 v5, v9, v5
	v_pk_mul_f16 v203, 0xbbddb461, v46
	v_pk_add_f16 v57, v64, v21
	v_pk_fma_f16 v65, 0xb8d22de8, v38, v187
	v_pk_fma_f16 v67, 0x31e1ba62, v39, v202 op_sel:[0,0,1] op_sel_hi:[1,1,0] neg_lo:[0,1,0] neg_hi:[0,1,0]
	v_add_f16_e32 v69, v61, v69
	v_pk_add_f16 v5, v6, v5
	v_bfi_b32 v6, 0xffff, v64, v10
	v_mul_f16_e64 v145, 0xbbdd, v62
	v_pk_mul_f16 v204, 0xbacd39e9, v47
	v_pk_add_f16 v57, v65, v57
	v_pk_fma_f16 v58, 0x31e1ba62, v39, v202 op_sel:[0,0,1] op_sel_hi:[1,1,0]
	v_pk_fma_f16 v11, 0x3bb2b1e1, v41, v203 op_sel:[0,0,1] op_sel_hi:[1,1,0] neg_lo:[0,1,0] neg_hi:[0,1,0]
	v_add_f16_e32 v69, v67, v69
	v_pk_add_f16 v5, v7, v5
	v_pk_add_f16 v6, v6, v21
	v_bfi_b32 v7, 0xffff, v65, v61
	v_pk_mul_f16 v205, 0xb4613b76, v48
	v_add_f16_e64 v66, v81, v145
	v_pk_add_f16 v57, v58, v57
	v_pk_fma_f16 v60, 0x3bb2b1e1, v41, v203 op_sel:[0,0,1] op_sel_hi:[1,1,0]
	v_pk_fma_f16 v68, 0x39643836, v44, v204 op_sel:[0,0,1] op_sel_hi:[1,1,0] neg_lo:[0,1,0] neg_hi:[0,1,0]
	v_add_f16_e32 v10, v11, v69
	v_pk_add_f16 v2, v2, v5
	v_pk_add_f16 v5, v7, v6
	v_bfi_b32 v6, 0xffff, v58, v67
	v_pk_mul_f16 v88, 0x37222de8, v51
	v_add_f16_e32 v36, v66, v36
	v_pk_add_f16 v57, v60, v57
	v_pk_fma_f16 v66, 0x39643836, v44, v204 op_sel:[0,0,1] op_sel_hi:[1,1,0]
	v_pk_fma_f16 v8, 0xb5c83bb2, v45, v205 op_sel:[0,0,1] op_sel_hi:[1,1,0] neg_lo:[0,1,0] neg_hi:[0,1,0]
	v_add_f16_e32 v10, v68, v10
	v_pk_add_f16 v2, v3, v2
	v_pk_add_f16 v3, v6, v5
	v_bfi_b32 v5, 0xffff, v60, v11
	v_fma_f16 v31, 0x3722, v62, v151
	v_pk_mul_f16 v89, 0x3b76bacd, v52
	v_add_f16_e32 v54, v55, v54
	v_fma_f16 v55, v62, 0xbacd, -v200
	v_pk_add_f16 v57, v66, v57
	v_pk_fma_f16 v62, 0xb5c83bb2, v45, v205 op_sel:[0,0,1] op_sel_hi:[1,1,0]
	v_fmac_f16_e32 v76, 0x2de8, v53
	v_pk_fma_f16 v53, 0xbbf73b29, v50, v88 op_sel:[0,0,1] op_sel_hi:[1,1,0] neg_lo:[0,1,0] neg_hi:[0,1,0]
	v_add_f16_e32 v7, v8, v10
	v_pk_add_f16 v0, v0, v2
	v_pk_add_f16 v2, v5, v3
	v_bfi_b32 v3, 0xffff, v66, v68
	v_add_f16_e32 v54, v55, v54
	v_pk_add_f16 v55, v62, v57
	v_pk_fma_f16 v57, 0xbbf73b29, v50, v88 op_sel:[0,0,1] op_sel_hi:[1,1,0]
	v_pk_fma_f16 v9, 0xb83635c8, v49, v89 op_sel:[0,0,1] op_sel_hi:[1,1,0] neg_lo:[0,1,0] neg_hi:[0,1,0]
	v_add_f16_e32 v6, v53, v7
	v_pk_add_f16 v0, v1, v0
	v_pk_add_f16 v1, v3, v2
	v_bfi_b32 v2, 0xffff, v62, v8
	v_fmac_f16_e64 v201, 0x39e9, v40
	v_add_f16_e32 v5, v9, v6
	v_pk_mul_f16 v6, 0xbbdd, v40 op_sel_hi:[0,1]
	v_pk_fma_f16 v8, 0xb83635c8, v49, v89 op_sel:[0,0,1] op_sel_hi:[1,1,0]
	v_pk_add_f16 v1, v2, v1
	v_bfi_b32 v2, 0xffff, v57, v53
	v_pk_mul_f16 v11, 0x35c8, v42 op_sel_hi:[0,1]
	v_pk_fma_f16 v10, 0xb1e1, v14, v6 op_sel:[0,0,1] op_sel_hi:[0,1,0] neg_lo:[0,1,0] neg_hi:[0,1,0]
	v_add_f16_e64 v4, v201, v4
	v_fmac_f16_e32 v77, 0xb8d2, v43
	v_pk_add_f16 v1, v2, v1
	v_pk_fma_f16 v2, 0xb1e1, v14, v6 op_sel:[0,0,1] op_sel_hi:[0,1,0]
	v_bfi_b32 v6, 0xffff, v8, v9
	v_pk_add_f16 v8, v10, v21
	v_pk_fma_f16 v9, 0x3b76, v38, v11 op_sel_hi:[0,1,1] neg_lo:[0,0,1] neg_hi:[0,0,1]
	v_pk_mul_f16 v10, 0xbacd, v43 op_sel_hi:[0,1]
	v_pk_add_f16 v2, v2, v21
	v_pk_fma_f16 v11, 0x3b76, v38, v11 op_sel_hi:[0,1,1]
	v_add_f16_e32 v4, v76, v4
	v_pk_add_f16 v1, v6, v1
	v_pk_add_f16 v6, v9, v8
	v_pk_fma_f16 v8, 0xb836, v39, v10 op_sel:[0,0,1] op_sel_hi:[0,1,0] neg_lo:[0,1,0] neg_hi:[0,1,0]
	v_pk_mul_f16 v9, 0x39e9, v46 op_sel_hi:[0,1]
	v_pk_add_f16 v2, v11, v2
	v_pk_fma_f16 v10, 0xb836, v39, v10 op_sel:[0,0,1] op_sel_hi:[0,1,0]
	v_mul_f16_e64 v163, 0x3b29, v86
	v_fmac_f16_e64 v188, 0xb461, v43
	v_add_f16_e32 v4, v77, v4
	v_fmac_f16_e32 v80, 0xbbdd, v46
	v_pk_add_f16 v6, v8, v6
	v_pk_fma_f16 v8, 0x3964, v41, v9 op_sel:[0,0,1] op_sel_hi:[0,1,0] neg_lo:[0,1,0] neg_hi:[0,1,0]
	v_pk_mul_f16 v14, 0xb8d2, v47 op_sel_hi:[0,1]
	v_pk_add_f16 v2, v10, v2
	v_pk_fma_f16 v9, 0x3964, v41, v9 op_sel:[0,0,1] op_sel_hi:[0,1,0]
	v_fmac_f16_e64 v170, 0x3722, v46
	v_add_f16_e32 v26, v31, v26
	v_fma_f16 v31, v52, 0x3722, -v163
	v_add_f16_e64 v35, v188, v35
	v_fmac_f16_e64 v191, 0x3b76, v46
	v_add_f16_e32 v4, v80, v4
	v_fmac_f16_e32 v79, 0xbacd, v47
	v_pk_add_f16 v6, v8, v6
	v_pk_fma_f16 v8, 0xba62, v44, v14 op_sel:[0,0,1] op_sel_hi:[0,1,0] neg_lo:[0,1,0] neg_hi:[0,1,0]
	v_pk_mul_f16 v10, 0x3722, v48 op_sel_hi:[0,1]
	v_pk_add_f16 v2, v9, v2
	v_pk_fma_f16 v9, 0xba62, v44, v14 op_sel:[0,0,1] op_sel_hi:[0,1,0]
	v_fmac_f16_e64 v155, 0x2de8, v47
	v_add_f16_e64 v34, v170, v34
	v_fmac_f16_e64 v173, 0xbbdd, v47
	v_add_f16_e32 v27, v31, v27
	v_mul_f16_e32 v31, 0x3964, v49
	v_add_f16_e64 v35, v191, v35
	v_fmac_f16_e64 v193, 0x3722, v47
	v_add_f16_e32 v4, v79, v4
	v_fmac_f16_e32 v82, 0xb461, v48
	v_pk_add_f16 v6, v8, v6
	v_pk_fma_f16 v8, 0x3b29, v45, v10 op_sel:[0,0,1] op_sel_hi:[0,1,0] neg_lo:[0,1,0] neg_hi:[0,1,0]
	v_pk_mul_f16 v21, 0xb461, v51 op_sel_hi:[0,1]
	v_pk_add_f16 v2, v9, v2
	v_pk_fma_f16 v9, 0x3b29, v45, v10 op_sel:[0,0,1] op_sel_hi:[0,1,0]
	v_add_f16_e64 v32, v155, v32
	v_fmac_f16_e64 v157, 0x39e9, v48
	v_add_f16_e64 v34, v173, v34
	v_fmac_f16_e64 v175, 0x2de8, v48
	v_pk_mul_f16 v71, 0xb83635c8, v49
	v_add_f16_e64 v35, v193, v35
	v_fmac_f16_e64 v195, 0xbacd, v48
	v_add_f16_e32 v4, v82, v4
	v_fmac_f16_e32 v73, 0x3722, v51
	v_pack_b32_f16 v14, v30, v29
	v_pk_add_f16 v6, v8, v6
	v_pk_fma_f16 v8, 0xbbb2, v50, v21 op_sel:[0,0,1] op_sel_hi:[0,1,0] neg_lo:[0,1,0] neg_hi:[0,1,0]
	v_pk_mul_f16 v29, 0x2de8, v52 op_sel_hi:[0,1]
	v_pk_add_f16 v2, v9, v2
	v_pk_fma_f16 v9, 0xbbb2, v50, v21 op_sel:[0,0,1] op_sel_hi:[0,1,0]
	v_pack_b32_f16 v21, v25, v24
	v_bfi_b32 v24, 0xffff, v31, v55
	v_add_f16_e64 v32, v157, v32
	v_fmac_f16_e64 v160, 0xbbdd, v51
	v_add_f16_e64 v34, v175, v34
	v_fmac_f16_e64 v177, 0x3b76, v51
	;; [unrolled: 2-line block ×3, first 2 shown]
	v_add_f16_e32 v4, v73, v4
	v_fmac_f16_e32 v74, 0x3b76, v52
	v_pk_add_f16 v6, v8, v6
	v_pk_fma_f16 v8, 0x3bf7, v49, v29 op_sel:[0,0,1] op_sel_hi:[0,1,0] neg_lo:[0,1,0] neg_hi:[0,1,0]
	v_pk_add_f16 v2, v9, v2
	v_pk_fma_f16 v9, 0x3bf7, v49, v29 op_sel:[0,0,1] op_sel_hi:[0,1,0]
	v_pk_add_f16 v24, v28, v24 neg_lo:[0,1] neg_hi:[0,1]
	v_pk_add_f16 v25, v57, v55
	v_pack_b32_f16 v28, v56, v89
	v_bfi_b32 v15, 0xffff, v15, v71
	v_add_f16_e64 v32, v160, v32
	v_fmac_f16_e64 v163, 0x3722, v52
	v_add_f16_e64 v34, v177, v34
	v_fmac_f16_e64 v179, 0xb8d2, v52
	;; [unrolled: 2-line block ×3, first 2 shown]
	v_add_f16_e32 v3, v74, v4
	v_lshlrev_b32_e32 v4, 2, v108
	v_pk_add_f16 v0, v37, v0
	v_pack_b32_f16 v7, v33, v36
	v_pk_add_f16 v6, v8, v6
	v_pk_add_f16 v2, v9, v2
	v_bfi_b32 v8, 0xffff, v24, v25
	v_pk_add_f16 v9, v28, v15
	v_alignbit_b32 v11, v184, v1, 16
	v_pack_b32_f16 v1, v63, v1
	v_pack_b32_f16 v10, v168, v72
	v_add_f16_e64 v32, v163, v32
	v_pack_b32_f16 v26, v27, v26
	v_add_f16_e64 v34, v179, v34
	v_add_f16_e64 v35, v199, v35
	ds_store_2addr_b32 v4, v0, v7 offset1:1
	ds_store_2addr_b32 v4, v1, v11 offset0:2 offset1:3
	ds_store_2addr_b32 v4, v10, v14 offset0:4 offset1:5
	;; [unrolled: 1-line block ×3, first 2 shown]
	v_pk_add_f16 v1, v8, v9
	v_alignbit_b32 v0, v6, v2, 16
	v_alignbit_b32 v2, v2, v6, 16
	v_pack_b32_f16 v6, v32, v12
	v_pack_b32_f16 v7, v23, v22
	;; [unrolled: 1-line block ×3, first 2 shown]
	v_alignbit_b32 v9, v54, v1, 16
	v_pack_b32_f16 v1, v35, v1
	v_pack_b32_f16 v3, v3, v5
	v_perm_b32 v5, v106, v110, 0x5040100
	ds_store_2addr_b32 v4, v2, v0 offset0:8 offset1:9
	ds_store_2addr_b32 v4, v7, v6 offset0:10 offset1:11
	ds_store_b32 v4, v8 offset:48
	ds_store_2addr_b32 v4, v1, v9 offset0:13 offset1:14
	ds_store_2addr_b32 v4, v3, v5 offset0:15 offset1:16
.LBB0_7:
	s_or_b32 exec_lo, exec_lo, s2
	scratch_load_b32 v105, off, off         ; 4-byte Folded Reload
	v_and_b32_e32 v0, 0xff, v59
	s_waitcnt vmcnt(0) lgkmcnt(0)
	s_barrier
	buffer_gl0_inv
	v_add_nc_u32_e32 v82, 0x800, v207
	v_mul_lo_u16 v0, 0xf1, v0
	v_add_nc_u32_e32 v86, 0x1000, v207
	v_add_nc_u32_e32 v92, 0x600, v207
	;; [unrolled: 1-line block ×4, first 2 shown]
	v_lshrrev_b16 v65, 12, v0
	v_add_nc_u32_e32 v96, 0x400, v207
	v_add_nc_u32_e32 v97, 0x1600, v207
	;; [unrolled: 1-line block ×3, first 2 shown]
	s_add_u32 s2, s12, 0x1a4c
	v_mul_lo_u16 v3, v65, 17
	v_and_b32_e32 v65, 0xffff, v65
	s_addc_u32 s3, s13, 0
	s_delay_alu instid0(VALU_DEP_1) | instskip(SKIP_3) | instid1(VALU_DEP_3)
	v_mul_u32_u24_e32 v65, 51, v65
	v_add_co_u32 v70, null, 0x66, v105
	v_add_co_u32 v69, null, 0x99, v105
	v_and_b32_e32 v1, 0xff, v105
	v_and_b32_e32 v7, 0xff, v70
	v_add_co_u32 v64, null, 0x132, v105
	s_delay_alu instid0(VALU_DEP_4) | instskip(NEXT) | instid1(VALU_DEP_4)
	v_and_b32_e32 v0, 0xff, v69
	v_mul_lo_u16 v1, 0xf1, v1
	s_delay_alu instid0(VALU_DEP_4) | instskip(SKIP_1) | instid1(VALU_DEP_4)
	v_mul_lo_u16 v2, 0xf1, v7
	v_add_co_u32 v72, null, 0xcc, v105
	v_mul_lo_u16 v0, 0xf1, v0
	s_delay_alu instid0(VALU_DEP_4) | instskip(NEXT) | instid1(VALU_DEP_4)
	v_lshrrev_b16 v4, 12, v1
	v_lshrrev_b16 v66, 12, v2
	v_sub_nc_u16 v1, v59, v3
	v_add_co_u32 v63, null, 0x165, v105
	v_lshrrev_b16 v67, 12, v0
	v_mul_lo_u16 v0, v4, 17
	v_mul_lo_u16 v2, v66, 17
	v_and_b32_e32 v68, 0xff, v1
	v_add_co_u32 v62, null, 0x198, v105
	s_delay_alu instid0(VALU_DEP_4) | instskip(NEXT) | instid1(VALU_DEP_4)
	v_sub_nc_u16 v5, v105, v0
	v_sub_nc_u16 v0, v70, v2
	s_delay_alu instid0(VALU_DEP_4)
	v_lshlrev_b32_e32 v2, 3, v68
	v_mul_lo_u16 v1, v67, 17
	v_add_co_u32 v71, null, 0xff, v105
	v_lshlrev_b16 v3, 1, v5
	global_load_b64 v[200:201], v2, s[0:1]
	v_sub_nc_u16 v1, v69, v1
	v_and_b32_e32 v73, 0xff, v0
	v_add_co_u32 v61, null, 0x1cb, v105
	v_and_b32_e32 v0, 0xfe, v3
	s_delay_alu instid0(VALU_DEP_4) | instskip(NEXT) | instid1(VALU_DEP_4)
	v_and_b32_e32 v74, 0xff, v1
	v_lshlrev_b32_e32 v1, 3, v73
	v_add_co_u32 v60, null, 0x1fe, v105
	s_delay_alu instid0(VALU_DEP_4) | instskip(NEXT) | instid1(VALU_DEP_4)
	v_lshlrev_b32_e32 v0, 2, v0
	v_lshlrev_b32_e32 v2, 3, v74
	s_clause 0x2
	global_load_b64 v[21:22], v1, s[0:1]
	global_load_b64 v[25:26], v2, s[0:1]
	;; [unrolled: 1-line block ×3, first 2 shown]
	ds_load_2addr_b32 v[12:13], v82 offset0:100 offset1:151
	ds_load_2addr_b32 v[0:1], v86 offset0:98 offset1:149
	ds_load_2addr_b32 v[2:3], v207 offset1:51
	v_add_lshl_u32 v20, v65, v68, 2
	v_and_b32_e32 v66, 0xffff, v66
	s_delay_alu instid0(VALU_DEP_1) | instskip(NEXT) | instid1(VALU_DEP_1)
	v_mul_u32_u24_e32 v66, 51, v66
	v_add_lshl_u32 v154, v66, v73, 2
	s_waitcnt lgkmcnt(2)
	v_lshrrev_b32_e32 v6, 16, v12
	s_waitcnt lgkmcnt(1)
	v_lshrrev_b32_e32 v8, 16, v1
	v_lshrrev_b32_e32 v11, 16, v0
	s_waitcnt lgkmcnt(0)
	v_lshrrev_b32_e32 v84, 16, v2
	s_waitcnt vmcnt(3)
	v_lshrrev_b32_e32 v159, 16, v200
	v_lshrrev_b32_e32 v112, 16, v201
	s_delay_alu instid0(VALU_DEP_2) | instskip(NEXT) | instid1(VALU_DEP_2)
	v_mul_f16_e64 v9, v6, v159
	v_mul_f16_e32 v10, v8, v112
	v_mul_f16_e64 v14, v12, v159
	v_mul_f16_e32 v75, v1, v112
	s_delay_alu instid0(VALU_DEP_4) | instskip(NEXT) | instid1(VALU_DEP_4)
	v_fma_f16 v9, v12, v200, -v9
	v_fma_f16 v76, v1, v201, -v10
	s_delay_alu instid0(VALU_DEP_4) | instskip(NEXT) | instid1(VALU_DEP_4)
	v_fmac_f16_e64 v14, v6, v200
	v_fmac_f16_e64 v75, v8, v201
	v_lshrrev_b32_e32 v6, 16, v3
	s_waitcnt vmcnt(0)
	v_lshrrev_b32_e32 v157, 16, v24
	v_add_f16_e32 v1, v9, v76
	v_add_f16_e32 v77, v3, v9
	;; [unrolled: 1-line block ×4, first 2 shown]
	v_mul_f16_e64 v8, v11, v157
	v_fmac_f16_e32 v3, -0.5, v1
	v_sub_f16_e32 v1, v14, v75
	v_fmac_f16_e32 v6, -0.5, v10
	v_mul_f16_e64 v10, v0, v157
	v_fma_f16 v8, v0, v24, -v8
	v_sub_f16_e32 v9, v9, v76
	v_fmamk_f16 v79, v1, 0x3aee, v3
	v_fmac_f16_e32 v3, 0xbaee, v1
	ds_load_2addr_b32 v[0:1], v92 offset0:126 offset1:177
	v_lshrrev_b32_e32 v15, 16, v23
	v_fmamk_f16 v80, v9, 0xbaee, v6
	v_fmac_f16_e32 v6, 0x3aee, v9
	v_fmac_f16_e32 v10, v11, v24
	v_add_f16_e32 v76, v77, v76
	scratch_store_b32 off, v15, off offset:88 ; 4-byte Folded Spill
	v_lshrrev_b32_e32 v165, 16, v26
	v_pack_b32_f16 v83, v3, v6
	v_add_f16_e32 v75, v78, v75
	v_lshrrev_b32_e32 v166, 16, v25
	v_lshrrev_b32_e32 v163, 16, v21
	;; [unrolled: 1-line block ×3, first 2 shown]
	s_delay_alu instid0(VALU_DEP_4) | instskip(SKIP_3) | instid1(VALU_DEP_1)
	v_pack_b32_f16 v65, v76, v75
	v_pack_b32_f16 v75, v79, v80
	s_waitcnt lgkmcnt(0)
	v_lshrrev_b32_e32 v9, 16, v1
	v_mul_f16_e32 v12, v9, v15
	s_delay_alu instid0(VALU_DEP_1) | instskip(SKIP_1) | instid1(VALU_DEP_2)
	v_fma_f16 v12, v1, v23, -v12
	v_mul_f16_e32 v1, v1, v15
	v_add_f16_e32 v14, v12, v8
	s_delay_alu instid0(VALU_DEP_2) | instskip(SKIP_2) | instid1(VALU_DEP_4)
	v_fmac_f16_e32 v1, v9, v23
	v_sub_f16_e32 v85, v12, v8
	v_and_b32_e32 v9, 0xffff, v60
	v_fma_f16 v81, -0.5, v14, v2
	v_add_f16_e32 v2, v2, v12
	v_add_f16_e32 v3, v84, v1
	;; [unrolled: 1-line block ×3, first 2 shown]
	v_sub_f16_e32 v87, v1, v10
	v_mad_u16 v1, v4, 51, v5
	v_add_f16_e32 v2, v2, v8
	v_add_f16_e32 v3, v3, v10
	v_fmac_f16_e32 v84, -0.5, v6
	v_and_b32_e32 v4, 0xffff, v64
	v_and_b32_e32 v5, 0xffff, v63
	;; [unrolled: 1-line block ×3, first 2 shown]
	v_pack_b32_f16 v88, v2, v3
	v_fmamk_f16 v2, v87, 0x3aee, v81
	v_fmamk_f16 v3, v85, 0xbaee, v84
	v_mul_u32_u24_e32 v4, 0xf0f1, v4
	v_mul_u32_u24_e32 v5, 0xf0f1, v5
	v_mul_u32_u24_e32 v6, 0xf0f1, v6
	v_and_b32_e32 v8, 0xffff, v61
	v_pack_b32_f16 v89, v2, v3
	v_and_b32_e32 v3, 0xff, v72
	v_lshrrev_b32_e32 v98, 20, v4
	v_and_b32_e32 v2, 0xffff, v71
	v_lshrrev_b32_e32 v99, 20, v5
	v_mul_u32_u24_e32 v8, 0xf0f1, v8
	v_mul_lo_u16 v3, 0xf1, v3
	v_lshrrev_b32_e32 v100, 20, v6
	v_mul_u32_u24_e32 v2, 0xf0f1, v2
	v_mul_u32_u24_e32 v9, 0xf0f1, v9
	v_lshrrev_b32_e32 v10, 20, v8
	v_lshrrev_b16 v91, 12, v3
	v_mul_lo_u16 v3, v98, 17
	v_lshrrev_b32_e32 v90, 20, v2
	v_lshrrev_b32_e32 v8, 20, v9
	v_and_b32_e32 v1, 0xff, v1
	v_fmac_f16_e32 v81, 0xbaee, v87
	v_sub_nc_u16 v102, v64, v3
	v_mul_lo_u16 v3, v99, 17
	v_mul_lo_u16 v2, v90, 17
	v_lshlrev_b32_e32 v113, 2, v1
	v_fmac_f16_e32 v84, 0x3aee, v85
	s_delay_alu instid0(VALU_DEP_4)
	v_sub_nc_u16 v103, v63, v3
	v_mul_lo_u16 v3, v100, 17
	v_sub_nc_u16 v101, v71, v2
	v_mul_lo_u16 v2, v91, 17
	v_pack_b32_f16 v68, v81, v84
	v_lshlrev_b16 v4, 1, v103
	v_sub_nc_u16 v152, v62, v3
	v_mul_lo_u16 v3, v10, 17
	v_sub_nc_u16 v2, v72, v2
	s_delay_alu instid0(VALU_DEP_4) | instskip(NEXT) | instid1(VALU_DEP_4)
	v_and_b32_e32 v4, 0xffff, v4
	v_lshlrev_b16 v5, 1, v152
	s_delay_alu instid0(VALU_DEP_4)
	v_sub_nc_u16 v11, v61, v3
	v_mul_lo_u16 v3, v8, 17
	v_and_b32_e32 v147, 0xff, v2
	v_lshlrev_b16 v2, 1, v101
	v_and_b32_e32 v5, 0xffff, v5
	v_lshlrev_b16 v6, 1, v11
	v_sub_nc_u16 v9, v60, v3
	v_lshlrev_b16 v3, 1, v102
	v_and_b32_e32 v2, 0xffff, v2
	v_mad_u16 v10, v10, 51, v11
	v_and_b32_e32 v6, 0xffff, v6
	v_lshlrev_b16 v12, 1, v9
	v_and_b32_e32 v3, 0xffff, v3
	v_lshlrev_b32_e32 v1, 2, v2
	v_lshlrev_b32_e32 v61, 3, v61
	s_delay_alu instid0(VALU_DEP_4) | instskip(NEXT) | instid1(VALU_DEP_4)
	v_and_b32_e32 v12, 0xffff, v12
	v_lshlrev_b32_e32 v2, 2, v3
	v_lshlrev_b32_e32 v3, 2, v4
	;; [unrolled: 1-line block ×6, first 2 shown]
	s_clause 0x1
	global_load_b64 v[27:28], v12, s[0:1]
	global_load_b64 v[29:30], v1, s[0:1]
	ds_load_b32 v12, v207 offset:6528
	s_clause 0x4
	global_load_b64 v[31:32], v2, s[0:1]
	global_load_b64 v[33:34], v3, s[0:1]
	;; [unrolled: 1-line block ×5, first 2 shown]
	ds_load_2addr_b32 v[14:15], v207 offset0:102 offset1:153
	ds_load_2addr_b32 v[43:44], v207 offset0:204 offset1:255
	ds_load_2addr_b32 v[45:46], v86 offset0:200 offset1:251
	ds_load_2addr_b32 v[47:48], v82 offset0:202 offset1:253
	ds_load_2addr_b32 v[49:50], v93 offset0:46 offset1:97
	ds_load_2addr_b32 v[51:52], v94 offset0:48 offset1:99
	ds_load_2addr_b32 v[53:54], v96 offset0:50 offset1:101
	ds_load_2addr_b32 v[55:56], v93 offset0:148 offset1:199
	ds_load_2addr_b32 v[57:58], v94 offset0:150 offset1:201
	ds_load_2addr_b32 v[3:4], v96 offset0:152 offset1:203
	ds_load_2addr_b32 v[5:6], v97 offset0:122 offset1:173
	ds_load_2addr_b32 v[1:2], v95 offset0:124 offset1:175
	s_waitcnt vmcnt(0) lgkmcnt(0)
	s_waitcnt_vscnt null, 0x0
	s_barrier
	buffer_gl0_inv
	ds_store_2addr_b32 v113, v88, v89 offset1:17
	ds_store_b32 v113, v68 offset:136
	ds_store_2addr_b32 v20, v65, v75 offset1:17
	v_lshrrev_b32_e32 v65, 16, v13
	s_clause 0x1
	scratch_store_b32 off, v41, off offset:100
	scratch_store_b32 off, v20, off offset:52
	v_lshrrev_b32_e32 v80, 16, v15
	v_lshrrev_b32_e32 v77, 16, v46
	v_mul_f16_e64 v79, v47, v166
	v_lshrrev_b32_e32 v75, 16, v45
	v_mul_f16_e64 v68, v65, v163
	s_delay_alu instid0(VALU_DEP_4) | instskip(NEXT) | instid1(VALU_DEP_3)
	v_mul_f16_e64 v78, v77, v165
	v_mul_f16_e32 v76, v75, v41
	s_delay_alu instid0(VALU_DEP_3) | instskip(SKIP_1) | instid1(VALU_DEP_4)
	v_fma_f16 v68, v13, v21, -v68
	v_mul_f16_e64 v13, v13, v163
	v_fma_f16 v78, v46, v26, -v78
	v_mul_f16_e64 v46, v46, v165
	v_fma_f16 v76, v45, v22, -v76
	v_mul_f16_e32 v45, v45, v41
	v_fmac_f16_e32 v13, v65, v21
	s_delay_alu instid0(VALU_DEP_4) | instskip(SKIP_1) | instid1(VALU_DEP_4)
	v_fmac_f16_e32 v46, v77, v26
	v_lshrrev_b32_e32 v77, 16, v47
	v_fmac_f16_e32 v45, v75, v22
	v_sub_f16_e32 v65, v68, v76
	s_delay_alu instid0(VALU_DEP_3) | instskip(SKIP_1) | instid1(VALU_DEP_4)
	v_fmac_f16_e32 v79, v77, v25
	v_mul_f16_e64 v77, v77, v166
	v_add_f16_e32 v75, v13, v45
	s_delay_alu instid0(VALU_DEP_3) | instskip(NEXT) | instid1(VALU_DEP_3)
	v_add_f16_e32 v84, v80, v79
	v_fma_f16 v47, v47, v25, -v77
	s_delay_alu instid0(VALU_DEP_1) | instskip(SKIP_2) | instid1(VALU_DEP_3)
	v_add_f16_e32 v77, v47, v78
	v_add_f16_e32 v81, v15, v47
	v_sub_f16_e32 v47, v47, v78
	v_fmac_f16_e32 v15, -0.5, v77
	v_add_f16_e32 v77, v79, v46
	s_delay_alu instid0(VALU_DEP_1) | instskip(SKIP_1) | instid1(VALU_DEP_1)
	v_fmac_f16_e32 v80, -0.5, v77
	v_sub_f16_e32 v77, v79, v46
	v_fmamk_f16 v79, v77, 0x3aee, v15
	v_fmac_f16_e32 v15, 0xbaee, v77
	s_delay_alu instid0(VALU_DEP_4) | instskip(SKIP_2) | instid1(VALU_DEP_2)
	v_fmamk_f16 v77, v47, 0xbaee, v80
	v_fmac_f16_e32 v80, 0x3aee, v47
	v_add_f16_e32 v47, v68, v76
	v_pack_b32_f16 v15, v15, v80
	v_lshrrev_b32_e32 v80, 16, v14
	s_delay_alu instid0(VALU_DEP_3) | instskip(SKIP_1) | instid1(VALU_DEP_3)
	v_fma_f16 v47, -0.5, v47, v14
	v_add_f16_e32 v14, v14, v68
	v_add_f16_e32 v68, v80, v13
	v_sub_f16_e32 v13, v13, v45
	s_delay_alu instid0(VALU_DEP_3) | instskip(SKIP_1) | instid1(VALU_DEP_4)
	v_add_f16_e32 v14, v14, v76
	v_fmac_f16_e32 v80, -0.5, v75
	v_add_f16_e32 v45, v68, v45
	s_delay_alu instid0(VALU_DEP_2) | instskip(SKIP_1) | instid1(VALU_DEP_3)
	v_fmamk_f16 v66, v65, 0xbaee, v80
	v_fmac_f16_e32 v80, 0x3aee, v65
	v_pack_b32_f16 v14, v14, v45
	v_fmamk_f16 v45, v13, 0x3aee, v47
	v_fmac_f16_e32 v47, 0xbaee, v13
	v_and_b32_e32 v13, 0xffff, v67
	s_delay_alu instid0(VALU_DEP_3)
	v_pack_b32_f16 v45, v45, v66
	ds_store_b32 v20, v83 offset:136
	ds_store_2addr_b32 v154, v14, v45 offset1:17
	v_add_f16_e32 v14, v81, v78
	v_add_f16_e32 v45, v84, v46
	v_mul_u32_u24_e32 v13, 51, v13
	v_and_b32_e32 v46, 0xffff, v91
	s_delay_alu instid0(VALU_DEP_2) | instskip(NEXT) | instid1(VALU_DEP_4)
	v_add_lshl_u32 v153, v13, v74, 2
	v_pack_b32_f16 v13, v14, v45
	v_pack_b32_f16 v14, v47, v80
	v_pack_b32_f16 v45, v79, v77
	ds_store_b32 v154, v14 offset:136
	ds_store_2addr_b32 v153, v13, v45 offset1:17
	v_lshrrev_b32_e32 v13, 16, v48
	v_mul_u32_u24_e32 v46, 51, v46
	v_lshrrev_b32_e32 v47, 16, v43
	s_delay_alu instid0(VALU_DEP_2)
	v_add_lshl_u32 v142, v46, v147, 2
	v_lshrrev_b32_e32 v171, 16, v31
	v_lshrrev_b32_e32 v20, 16, v27
	;; [unrolled: 1-line block ×6, first 2 shown]
	v_mul_f16_e32 v45, v48, v20
	v_mul_f16_e32 v14, v13, v20
	v_mul_f16_e64 v46, v49, v168
	scratch_store_b32 off, v20, off offset:92 ; 4-byte Folded Spill
	v_lshrrev_b32_e32 v173, 16, v34
	v_fmac_f16_e32 v45, v13, v27
	v_lshrrev_b32_e32 v13, 16, v49
	v_fma_f16 v14, v48, v27, -v14
	v_lshrrev_b32_e32 v174, 16, v33
	v_lshrrev_b32_e32 v175, 16, v35
	v_add_f16_e32 v48, v47, v45
	v_fmac_f16_e32 v46, v13, v28
	v_mul_f16_e64 v13, v13, v168
	v_lshrrev_b32_e32 v176, 16, v36
	s_delay_alu instid0(VALU_DEP_3) | instskip(NEXT) | instid1(VALU_DEP_3)
	v_sub_f16_e32 v65, v45, v46
	v_fma_f16 v13, v49, v28, -v13
	v_add_f16_e32 v45, v45, v46
	v_add_f16_e32 v46, v48, v46
	;; [unrolled: 1-line block ×3, first 2 shown]
	s_delay_alu instid0(VALU_DEP_4) | instskip(NEXT) | instid1(VALU_DEP_4)
	v_add_f16_e32 v49, v14, v13
	v_fmac_f16_e32 v47, -0.5, v45
	s_delay_alu instid0(VALU_DEP_3) | instskip(SKIP_1) | instid1(VALU_DEP_4)
	v_add_f16_e32 v48, v48, v13
	v_sub_f16_e32 v13, v14, v13
	v_fma_f16 v43, -0.5, v49, v43
	v_lshrrev_b32_e32 v49, 16, v44
	s_delay_alu instid0(VALU_DEP_4) | instskip(NEXT) | instid1(VALU_DEP_4)
	v_pack_b32_f16 v14, v48, v46
	v_fmamk_f16 v46, v13, 0xbaee, v47
	s_delay_alu instid0(VALU_DEP_4) | instskip(SKIP_2) | instid1(VALU_DEP_3)
	v_fmamk_f16 v45, v65, 0x3aee, v43
	v_fmac_f16_e32 v43, 0xbaee, v65
	v_fmac_f16_e32 v47, 0x3aee, v13
	v_pack_b32_f16 v45, v45, v46
	ds_store_b32 v153, v15 offset:136
	ds_store_2addr_b32 v142, v14, v45 offset1:17
	v_lshrrev_b32_e32 v14, 16, v50
	v_mul_f16_e64 v45, v50, v169
	v_mul_f16_e64 v46, v51, v170
	v_pack_b32_f16 v43, v43, v47
	s_delay_alu instid0(VALU_DEP_4) | instskip(NEXT) | instid1(VALU_DEP_4)
	v_mul_f16_e64 v15, v14, v169
	v_fmac_f16_e32 v45, v14, v30
	v_lshrrev_b32_e32 v14, 16, v51
	ds_store_b32 v142, v43 offset:136
	v_fma_f16 v15, v50, v30, -v15
	v_fmac_f16_e32 v46, v14, v29
	v_mul_f16_e64 v14, v14, v170
	s_delay_alu instid0(VALU_DEP_1) | instskip(NEXT) | instid1(VALU_DEP_3)
	v_fma_f16 v14, v51, v29, -v14
	v_add_f16_e32 v51, v49, v46
	s_delay_alu instid0(VALU_DEP_2) | instskip(SKIP_2) | instid1(VALU_DEP_3)
	v_add_f16_e32 v48, v14, v15
	v_add_f16_e32 v50, v44, v14
	v_sub_f16_e32 v14, v14, v15
	v_fmac_f16_e32 v44, -0.5, v48
	v_add_f16_e32 v48, v46, v45
	v_sub_f16_e32 v46, v46, v45
	v_add_f16_e32 v13, v50, v15
	v_add_f16_e32 v15, v51, v45
	v_mul_f16_e64 v45, v55, v172
	v_fmac_f16_e32 v49, -0.5, v48
	v_fmamk_f16 v48, v46, 0x3aee, v44
	v_fmac_f16_e32 v44, 0xbaee, v46
	v_pack_b32_f16 v13, v13, v15
	s_delay_alu instid0(VALU_DEP_4) | instskip(SKIP_1) | instid1(VALU_DEP_2)
	v_fmamk_f16 v46, v14, 0xbaee, v49
	v_fmac_f16_e32 v49, 0x3aee, v14
	v_pack_b32_f16 v15, v48, v46
	s_delay_alu instid0(VALU_DEP_2) | instskip(SKIP_2) | instid1(VALU_DEP_2)
	v_pack_b32_f16 v14, v44, v49
	v_mad_u16 v44, v90, 51, v101
	v_lshrrev_b32_e32 v46, 16, v53
	v_and_b32_e32 v43, 0xffff, v44
	v_mad_u16 v44, v98, 51, v102
	s_delay_alu instid0(VALU_DEP_2)
	v_lshlrev_b32_e32 v156, 2, v43
	v_mul_f16_e64 v43, v52, v171
	ds_store_2addr_b32 v156, v13, v15 offset1:17
	v_lshrrev_b32_e32 v13, 16, v52
	ds_store_b32 v156, v14 offset:136
	v_and_b32_e32 v14, 0xffff, v44
	v_mul_f16_e64 v44, v56, v173
	v_mul_f16_e64 v15, v13, v171
	v_fmac_f16_e32 v43, v13, v31
	v_lshrrev_b32_e32 v13, 16, v55
	v_lshlrev_b32_e32 v155, 2, v14
	v_lshrrev_b32_e32 v14, 16, v56
	v_fma_f16 v15, v52, v31, -v15
	v_add_f16_e32 v47, v46, v43
	v_fmac_f16_e32 v45, v13, v32
	v_mul_f16_e64 v13, v13, v172
	v_fmac_f16_e32 v44, v14, v34
	s_delay_alu instid0(VALU_DEP_3) | instskip(NEXT) | instid1(VALU_DEP_3)
	v_sub_f16_e32 v48, v43, v45
	v_fma_f16 v13, v55, v32, -v13
	v_add_f16_e32 v43, v43, v45
	v_add_f16_e32 v45, v47, v45
	;; [unrolled: 1-line block ×3, first 2 shown]
	s_delay_alu instid0(VALU_DEP_4) | instskip(NEXT) | instid1(VALU_DEP_4)
	v_add_f16_e32 v49, v15, v13
	v_fmac_f16_e32 v46, -0.5, v43
	s_delay_alu instid0(VALU_DEP_3) | instskip(SKIP_1) | instid1(VALU_DEP_4)
	v_add_f16_e32 v47, v47, v13
	v_sub_f16_e32 v13, v15, v13
	v_fma_f16 v43, -0.5, v49, v53
	v_lshrrev_b32_e32 v49, 16, v54
	s_delay_alu instid0(VALU_DEP_4) | instskip(NEXT) | instid1(VALU_DEP_4)
	v_pack_b32_f16 v15, v47, v45
	v_fmamk_f16 v47, v13, 0xbaee, v46
	s_delay_alu instid0(VALU_DEP_4) | instskip(SKIP_2) | instid1(VALU_DEP_3)
	v_fmamk_f16 v45, v48, 0x3aee, v43
	v_fmac_f16_e32 v43, 0xbaee, v48
	v_fmac_f16_e32 v46, 0x3aee, v13
	v_pack_b32_f16 v45, v45, v47
	s_delay_alu instid0(VALU_DEP_2)
	v_pack_b32_f16 v43, v43, v46
	ds_store_2addr_b32 v155, v15, v45 offset1:17
	v_mul_f16_e64 v15, v14, v173
	v_lshrrev_b32_e32 v14, 16, v57
	v_mul_f16_e64 v45, v57, v174
	ds_store_b32 v155, v43 offset:136
	v_fma_f16 v15, v56, v34, -v15
	v_fmac_f16_e32 v45, v14, v33
	v_mul_f16_e64 v14, v14, v174
	s_delay_alu instid0(VALU_DEP_2) | instskip(NEXT) | instid1(VALU_DEP_2)
	v_add_f16_e32 v51, v49, v45
	v_fma_f16 v14, v57, v33, -v14
	s_delay_alu instid0(VALU_DEP_1) | instskip(SKIP_2) | instid1(VALU_DEP_3)
	v_add_f16_e32 v47, v14, v15
	v_add_f16_e32 v50, v54, v14
	v_sub_f16_e32 v14, v14, v15
	v_fmac_f16_e32 v54, -0.5, v47
	v_add_f16_e32 v47, v45, v44
	v_sub_f16_e32 v45, v45, v44
	v_add_f16_e32 v13, v50, v15
	v_add_f16_e32 v15, v51, v44
	v_mad_u16 v44, v99, 51, v103
	v_fmac_f16_e32 v49, -0.5, v47
	v_fmamk_f16 v47, v45, 0x3aee, v54
	v_fmac_f16_e32 v54, 0xbaee, v45
	v_pack_b32_f16 v13, v13, v15
	v_and_b32_e32 v43, 0xffff, v44
	v_fmamk_f16 v45, v14, 0xbaee, v49
	v_mul_f16_e64 v44, v5, v176
	v_fmac_f16_e32 v49, 0x3aee, v14
	s_delay_alu instid0(VALU_DEP_4) | instskip(NEXT) | instid1(VALU_DEP_4)
	v_lshlrev_b32_e32 v141, 2, v43
	v_pack_b32_f16 v15, v47, v45
	v_mul_f16_e64 v43, v58, v175
	v_lshrrev_b32_e32 v45, 16, v3
	v_pack_b32_f16 v14, v54, v49
	ds_store_2addr_b32 v141, v13, v15 offset1:17
	v_lshrrev_b32_e32 v13, 16, v58
	ds_store_b32 v141, v14 offset:136
	v_mul_f16_e64 v15, v13, v175
	v_fmac_f16_e32 v43, v13, v35
	v_lshrrev_b32_e32 v13, 16, v5
	s_delay_alu instid0(VALU_DEP_3) | instskip(NEXT) | instid1(VALU_DEP_3)
	v_fma_f16 v15, v58, v35, -v15
	v_add_f16_e32 v47, v45, v43
	s_delay_alu instid0(VALU_DEP_3) | instskip(SKIP_1) | instid1(VALU_DEP_2)
	v_fmac_f16_e32 v44, v13, v36
	v_mul_f16_e64 v13, v13, v176
	v_add_f16_e32 v46, v43, v44
	s_delay_alu instid0(VALU_DEP_2)
	v_fma_f16 v5, v5, v36, -v13
	v_add_f16_e32 v13, v3, v15
	v_sub_f16_e32 v43, v43, v44
	v_add_f16_e32 v44, v47, v44
	v_fmac_f16_e32 v45, -0.5, v46
	v_add_f16_e32 v46, v15, v5
	v_add_f16_e32 v13, v13, v5
	v_sub_f16_e32 v5, v15, v5
	v_mad_u16 v15, v100, 51, v152
	s_delay_alu instid0(VALU_DEP_4) | instskip(NEXT) | instid1(VALU_DEP_4)
	v_fma_f16 v3, -0.5, v46, v3
	v_pack_b32_f16 v13, v13, v44
	s_delay_alu instid0(VALU_DEP_4) | instskip(NEXT) | instid1(VALU_DEP_4)
	v_fmamk_f16 v44, v5, 0xbaee, v45
	v_and_b32_e32 v15, 0xffff, v15
	v_fmac_f16_e32 v45, 0x3aee, v5
	v_fmamk_f16 v14, v43, 0x3aee, v3
	v_lshrrev_b32_e32 v5, 16, v1
	v_fmac_f16_e32 v3, 0xbaee, v43
	v_lshlrev_b32_e32 v152, 2, v15
	v_lshrrev_b32_e32 v15, 16, v38
	v_pack_b32_f16 v14, v14, v44
	s_delay_alu instid0(VALU_DEP_4)
	v_pack_b32_f16 v3, v3, v45
	scratch_store_b32 off, v15, off offset:80 ; 4-byte Folded Spill
	ds_store_2addr_b32 v152, v13, v14 offset1:17
	v_lshrrev_b32_e32 v13, 16, v6
	ds_store_b32 v152, v3 offset:136
	v_and_b32_e32 v3, 0xffff, v10
	v_lshrrev_b32_e32 v10, 16, v0
	v_mul_f16_e32 v14, v13, v15
	s_delay_alu instid0(VALU_DEP_1) | instskip(SKIP_2) | instid1(VALU_DEP_2)
	v_fma_f16 v14, v6, v38, -v14
	v_mul_f16_e32 v6, v6, v15
	v_lshrrev_b32_e32 v15, 16, v37
	v_fmac_f16_e32 v6, v13, v38
	s_delay_alu instid0(VALU_DEP_2) | instskip(SKIP_4) | instid1(VALU_DEP_2)
	v_mul_f16_e32 v13, v1, v15
	scratch_store_b32 off, v15, off offset:56 ; 4-byte Folded Spill
	v_fmac_f16_e32 v13, v5, v37
	v_mul_f16_e32 v5, v5, v15
	v_lshrrev_b32_e32 v15, 16, v4
	v_fma_f16 v1, v1, v37, -v5
	s_delay_alu instid0(VALU_DEP_2) | instskip(NEXT) | instid1(VALU_DEP_2)
	v_add_f16_e32 v44, v15, v13
	v_add_f16_e32 v5, v1, v14
	;; [unrolled: 1-line block ×3, first 2 shown]
	v_sub_f16_e32 v1, v1, v14
	s_delay_alu instid0(VALU_DEP_3) | instskip(SKIP_1) | instid1(VALU_DEP_1)
	v_fmac_f16_e32 v4, -0.5, v5
	v_add_f16_e32 v5, v13, v6
	v_fmac_f16_e32 v15, -0.5, v5
	v_sub_f16_e32 v5, v13, v6
	v_add_f16_e32 v6, v44, v6
	v_add_f16_e32 v13, v43, v14
	s_delay_alu instid0(VALU_DEP_3) | instskip(SKIP_1) | instid1(VALU_DEP_3)
	v_fmamk_f16 v11, v5, 0x3aee, v4
	v_fmac_f16_e32 v4, 0xbaee, v5
	v_pack_b32_f16 v6, v13, v6
	v_fmamk_f16 v13, v1, 0xbaee, v15
	v_fmac_f16_e32 v15, 0x3aee, v1
	v_lshrrev_b32_e32 v5, 16, v39
	s_delay_alu instid0(VALU_DEP_3)
	v_pack_b32_f16 v11, v11, v13
	v_lshlrev_b32_e32 v13, 2, v3
	v_lshrrev_b32_e32 v3, 16, v2
	v_pack_b32_f16 v1, v4, v15
	ds_store_2addr_b32 v13, v6, v11 offset1:17
	v_mul_f16_e32 v4, v3, v5
	v_lshrrev_b32_e32 v6, 16, v40
	scratch_store_b32 off, v5, off offset:68 ; 4-byte Folded Spill
	ds_store_b32 v13, v1 offset:136
	scratch_store_b32 off, v13, off offset:60 ; 4-byte Folded Spill
	v_fma_f16 v4, v2, v39, -v4
	scratch_store_b32 off, v6, off offset:104 ; 4-byte Folded Spill
	v_mul_f16_e32 v2, v2, v5
	v_add_f16_e32 v11, v0, v4
	s_delay_alu instid0(VALU_DEP_2) | instskip(SKIP_1) | instid1(VALU_DEP_1)
	v_fmac_f16_e32 v2, v3, v39
	v_lshrrev_b32_e32 v3, 16, v12
	v_mul_f16_e32 v5, v3, v6
	v_mul_f16_e32 v6, v12, v6
	s_delay_alu instid0(VALU_DEP_2) | instskip(NEXT) | instid1(VALU_DEP_2)
	v_fma_f16 v5, v12, v40, -v5
	v_fmac_f16_e32 v6, v3, v40
	v_add_f16_e32 v12, v10, v2
	s_delay_alu instid0(VALU_DEP_3) | instskip(NEXT) | instid1(VALU_DEP_1)
	v_add_f16_e32 v3, v4, v5
	v_fmac_f16_e32 v0, -0.5, v3
	s_delay_alu instid0(VALU_DEP_4) | instskip(SKIP_1) | instid1(VALU_DEP_2)
	v_add_f16_e32 v3, v2, v6
	v_sub_f16_e32 v2, v2, v6
	v_fmac_f16_e32 v10, -0.5, v3
	s_delay_alu instid0(VALU_DEP_2) | instskip(SKIP_2) | instid1(VALU_DEP_1)
	v_fmamk_f16 v3, v2, 0x3aee, v0
	v_fmac_f16_e32 v0, 0xbaee, v2
	v_sub_f16_e32 v2, v4, v5
	v_fmamk_f16 v4, v2, 0xbaee, v10
	v_fmac_f16_e32 v10, 0x3aee, v2
	v_add_f16_e32 v2, v11, v5
	v_add_f16_e32 v5, v12, v6
	v_mad_u16 v6, v8, 51, v9
	v_pack_b32_f16 v3, v3, v4
	v_pack_b32_f16 v0, v0, v10
	s_delay_alu instid0(VALU_DEP_4) | instskip(NEXT) | instid1(VALU_DEP_4)
	v_pack_b32_f16 v2, v2, v5
	v_and_b32_e32 v1, 0xffff, v6
	s_delay_alu instid0(VALU_DEP_1)
	v_lshlrev_b32_e32 v162, 2, v1
	ds_store_2addr_b32 v162, v2, v3 offset1:17
	ds_store_b32 v162, v0 offset:136
	v_mul_lo_u16 v0, 0xa1, v7
	s_waitcnt lgkmcnt(0)
	s_waitcnt_vscnt null, 0x0
	s_barrier
	buffer_gl0_inv
	v_lshrrev_b16 v0, 13, v0
	s_delay_alu instid0(VALU_DEP_1) | instskip(NEXT) | instid1(VALU_DEP_1)
	v_mul_lo_u16 v0, v0, 51
	v_sub_nc_u16 v0, v70, v0
	s_delay_alu instid0(VALU_DEP_1)
	v_and_b32_e32 v73, 0xff, v0
	v_mad_u64_u32 v[0:1], null, v105, 40, s[0:1]
	s_clause 0x2
	global_load_b64 v[65:66], v[0:1], off offset:168
	global_load_b128 v[12:15], v[0:1], off offset:136
	global_load_b128 v[0:3], v[0:1], off offset:152
	ds_load_2addr_b32 v[76:77], v97 offset0:122 offset1:173
	ds_load_2addr_b32 v[43:44], v207 offset0:102 offset1:153
	;; [unrolled: 1-line block ×3, first 2 shown]
	ds_load_2addr_b32 v[78:79], v207 offset1:51
	ds_load_2addr_b32 v[80:81], v86 offset0:200 offset1:251
	ds_load_2addr_b32 v[83:84], v82 offset0:100 offset1:151
	;; [unrolled: 1-line block ×3, first 2 shown]
	v_mad_u64_u32 v[8:9], null, v73, 40, s[0:1]
	v_lshlrev_b32_e32 v160, 2, v73
	s_delay_alu instid0(VALU_DEP_1)
	v_add_nc_u32_e32 v73, 0x1000, v160
	s_waitcnt lgkmcnt(6)
	v_lshrrev_b32_e32 v45, 16, v76
	s_waitcnt lgkmcnt(5)
	v_lshrrev_b32_e32 v4, 16, v44
	;; [unrolled: 2-line block ×3, first 2 shown]
	s_waitcnt vmcnt(2)
	v_lshrrev_b32_e32 v68, 16, v66
	s_waitcnt vmcnt(1)
	v_lshrrev_b32_e32 v208, 16, v12
	v_lshrrev_b32_e32 v41, 16, v13
	;; [unrolled: 1-line block ×3, first 2 shown]
	s_waitcnt vmcnt(0)
	v_lshrrev_b32_e32 v205, 16, v3
	v_mul_f16_e32 v90, v76, v68
	v_mul_f16_e32 v47, v45, v68
	v_mul_f16_e64 v85, v44, v208
	v_mul_f16_e64 v10, v4, v208
	v_mul_f16_e32 v89, v74, v41
	v_fmac_f16_e32 v90, v45, v66
	ds_load_2addr_b32 v[45:46], v93 offset0:46 offset1:97
	v_fmac_f16_e32 v85, v4, v12
	v_lshrrev_b32_e32 v4, 16, v74
	v_fma_f16 v76, v76, v66, -v47
	v_fma_f16 v98, v44, v12, -v10
	s_waitcnt lgkmcnt(3)
	v_mul_f16_e64 v191, v80, v205
	v_sub_f16_e32 v100, v85, v90
	v_fmac_f16_e32 v89, v4, v13
	v_mul_f16_e32 v11, v4, v41
	v_add_f16_e32 v101, v98, v76
	v_sub_f16_e64 v178, v98, v76
	v_mul_f16_e32 v102, 0xbb47, v100
	v_add_f16_e64 v179, v85, v90
	v_fma_f16 v74, v74, v13, -v11
	v_mul_f16_e64 v187, 0xbbeb, v100
	v_mul_f16_e64 v180, 0xbb47, v178
	v_fma_f16 v10, v101, 0x36a6, -v102
	v_mul_f16_e64 v189, 0xbbeb, v178
	v_lshrrev_b32_e32 v42, 16, v14
	v_lshrrev_b32_e32 v104, 16, v15
	s_waitcnt lgkmcnt(0)
	v_lshrrev_b32_e32 v48, 16, v46
	v_mul_f16_e32 v91, v46, v67
	v_add_f16_e32 v10, v78, v10
	v_lshrrev_b32_e32 v167, 16, v2
	v_mul_f16_e64 v212, v83, v104
	v_lshrrev_b32_e32 v20, 16, v1
	v_fmac_f16_e32 v91, v48, v65
	v_mul_f16_e32 v48, v48, v67
	v_add_f16_e32 v98, v78, v98
	v_add_f16_e64 v85, v183, v85
	v_mul_f16_e64 v223, v87, v20
	v_sub_f16_e32 v103, v89, v91
	v_fma_f16 v99, v46, v65, -v48
	v_add_f16_e64 v185, v89, v91
	v_lshrrev_b32_e32 v209, 16, v0
	v_add_f16_e32 v85, v85, v89
	v_mul_f16_e64 v177, 0xba0c, v103
	v_add_f16_e64 v158, v74, v99
	v_sub_f16_e64 v184, v74, v99
	v_mul_f16_e64 v188, 0x3482, v103
	v_add_f16_e32 v74, v98, v74
	v_mul_f16_e32 v98, 0xbb47, v103
	v_fma_f16 v11, v158, 0xb93d, -v177
	v_mul_f16_e64 v186, 0xba0c, v184
	v_fma_f16 v46, v158, 0xbbad, -v188
	v_mul_f16_e64 v190, 0x3482, v184
	global_load_b128 v[4:7], v[8:9], off offset:136
	v_add_f16_e32 v10, v11, v10
	v_fma_f16 v11, 0x36a6, v179, v180
	v_fma_f16 v44, 0xb93d, v185, v186
	;; [unrolled: 1-line block ×3, first 2 shown]
	v_fmac_f16_e32 v102, 0x36a6, v101
	v_fmac_f16_e64 v177, 0xb93d, v158
	v_add_f16_e64 v11, v183, v11
	v_fmac_f16_e64 v188, 0xbbad, v158
	s_delay_alu instid0(VALU_DEP_2) | instskip(SKIP_2) | instid1(VALU_DEP_2)
	v_add_f16_e32 v11, v44, v11
	v_fma_f16 v44, v101, 0xb08e, -v187
	v_fmac_f16_e64 v187, 0xb08e, v101
	v_add_f16_e32 v44, v78, v44
	s_delay_alu instid0(VALU_DEP_1) | instskip(SKIP_1) | instid1(VALU_DEP_1)
	v_add_f16_e32 v44, v46, v44
	v_fma_f16 v46, 0xb08e, v179, v189
	v_add_f16_e64 v46, v183, v46
	s_delay_alu instid0(VALU_DEP_1) | instskip(SKIP_1) | instid1(VALU_DEP_1)
	v_add_f16_e32 v48, v47, v46
	v_lshrrev_b32_e32 v46, 16, v80
	v_fmac_f16_e64 v191, v46, v3
	v_mul_f16_e64 v49, v46, v205
	ds_load_2addr_b32 v[46:47], v96 offset0:152 offset1:203
	v_fma_f16 v80, v80, v3, -v49
	s_waitcnt lgkmcnt(0)
	v_lshrrev_b32_e32 v50, 16, v47
	v_mul_f16_e64 v192, v47, v42
	s_delay_alu instid0(VALU_DEP_1) | instskip(SKIP_1) | instid1(VALU_DEP_2)
	v_fmac_f16_e64 v192, v50, v14
	v_mul_f16_e32 v50, v50, v42
	v_sub_f16_e64 v194, v192, v191
	s_delay_alu instid0(VALU_DEP_2)
	v_fma_f16 v193, v47, v14, -v50
	v_add_f16_e64 v198, v192, v191
	v_add_f16_e64 v85, v85, v192
	v_fma_f16 v192, v158, 0x36a6, -v98
	v_mul_f16_e64 v196, 0x3482, v194
	v_add_f16_e64 v195, v193, v80
	v_sub_f16_e64 v197, v193, v80
	v_mul_f16_e64 v210, 0x3b47, v194
	v_add_f16_e64 v74, v74, v193
	v_fmac_f16_e64 v98, 0x36a6, v158
	v_fma_f16 v47, v195, 0xbbad, -v196
	v_mul_f16_e64 v199, 0x3482, v197
	v_mul_f16_e64 v211, 0x3b47, v197
	v_fmac_f16_e64 v196, 0xbbad, v195
	s_delay_alu instid0(VALU_DEP_4) | instskip(NEXT) | instid1(VALU_DEP_4)
	v_add_f16_e32 v10, v47, v10
	v_fma_f16 v47, 0xbbad, v198, v199
	s_delay_alu instid0(VALU_DEP_1) | instskip(SKIP_2) | instid1(VALU_DEP_2)
	v_add_f16_e32 v11, v47, v11
	v_fma_f16 v47, v195, 0x36a6, -v210
	v_fmac_f16_e64 v210, 0x36a6, v195
	v_add_f16_e32 v44, v47, v44
	v_fma_f16 v47, 0x36a6, v198, v211
	s_delay_alu instid0(VALU_DEP_1) | instskip(SKIP_1) | instid1(VALU_DEP_1)
	v_add_f16_e32 v49, v47, v48
	v_lshrrev_b32_e32 v47, 16, v83
	v_fmac_f16_e64 v212, v47, v15
	v_mul_f16_e32 v50, v47, v104
	ds_load_2addr_b32 v[47:48], v95 offset0:124 offset1:175
	v_fma_f16 v83, v83, v15, -v50
	s_delay_alu instid0(VALU_DEP_1) | instskip(SKIP_3) | instid1(VALU_DEP_1)
	v_add_f16_e32 v74, v74, v83
	s_waitcnt lgkmcnt(0)
	v_lshrrev_b32_e32 v51, 16, v48
	v_mul_f16_e64 v213, v48, v167
	v_fmac_f16_e64 v213, v51, v2
	v_mul_f16_e64 v51, v51, v167
	s_delay_alu instid0(VALU_DEP_2) | instskip(NEXT) | instid1(VALU_DEP_2)
	v_sub_f16_e64 v215, v212, v213
	v_fma_f16 v214, v48, v2, -v51
	v_add_f16_e64 v219, v212, v213
	s_delay_alu instid0(VALU_DEP_3) | instskip(NEXT) | instid1(VALU_DEP_3)
	v_mul_f16_e64 v217, 0x3beb, v215
	v_add_f16_e64 v216, v83, v214
	v_sub_f16_e64 v218, v83, v214
	v_mul_f16_e64 v221, 0xb853, v215
	v_add_f16_e64 v83, v85, v212
	v_mul_f16_e32 v85, 0xb853, v100
	v_fma_f16 v48, v216, 0xb08e, -v217
	v_mul_f16_e64 v220, 0x3beb, v218
	v_mul_f16_e64 v222, 0xb853, v218
	;; [unrolled: 1-line block ×3, first 2 shown]
	v_fma_f16 v89, v101, 0x3abb, -v85
	v_add_f16_e32 v10, v48, v10
	v_fma_f16 v48, 0xb08e, v219, v220
	v_fmac_f16_e64 v217, 0xb08e, v216
	v_fmac_f16_e32 v85, 0x3abb, v101
	v_add_f16_e32 v89, v78, v89
	s_delay_alu instid0(VALU_DEP_4) | instskip(SKIP_2) | instid1(VALU_DEP_4)
	v_add_f16_e32 v11, v48, v11
	v_fma_f16 v48, v216, 0x3abb, -v221
	v_fmac_f16_e64 v221, 0x3abb, v216
	v_add_f16_e64 v89, v192, v89
	v_mul_f16_e64 v192, 0xb853, v178
	s_delay_alu instid0(VALU_DEP_4) | instskip(SKIP_1) | instid1(VALU_DEP_3)
	v_add_f16_e32 v44, v48, v44
	v_fma_f16 v48, 0x3abb, v219, v222
	v_fma_f16 v193, 0x3abb, v179, v192
	s_delay_alu instid0(VALU_DEP_2) | instskip(SKIP_1) | instid1(VALU_DEP_3)
	v_add_f16_e32 v50, v48, v49
	v_lshrrev_b32_e32 v48, 16, v87
	v_add_f16_e64 v193, v183, v193
	s_delay_alu instid0(VALU_DEP_2)
	v_fmac_f16_e64 v223, v48, v1
	v_mul_f16_e32 v51, v48, v20
	ds_load_2addr_b32 v[48:49], v82 offset0:202 offset1:253
	v_fma_f16 v87, v87, v1, -v51
	s_waitcnt lgkmcnt(0)
	v_lshrrev_b32_e32 v52, 16, v49
	v_mul_f16_e64 v224, v49, v209
	s_delay_alu instid0(VALU_DEP_1) | instskip(SKIP_1) | instid1(VALU_DEP_2)
	v_fmac_f16_e64 v224, v52, v0
	v_mul_f16_e64 v52, v52, v209
	v_add_f16_e64 v83, v83, v224
	s_delay_alu instid0(VALU_DEP_2)
	v_fma_f16 v225, v49, v0, -v52
	v_sub_f16_e64 v226, v224, v223
	v_add_f16_e64 v230, v224, v223
	v_fma_f16 v224, 0x36a6, v185, v212
	v_add_f16_e64 v83, v83, v223
	v_add_f16_e64 v74, v74, v225
	v_add_f16_e64 v227, v225, v87
	v_sub_f16_e64 v229, v225, v87
	v_mul_f16_e64 v228, 0x3853, v226
	v_add_f16_e64 v83, v83, v213
	v_add_f16_e32 v74, v74, v87
	v_mul_f16_e64 v87, 0xbbeb, v194
	v_mul_f16_e64 v213, 0xba0c, v215
	v_fma_f16 v49, v227, 0x3abb, -v228
	v_mul_f16_e64 v231, 0x3853, v229
	v_add_f16_e64 v74, v74, v214
	v_fma_f16 v223, v195, 0xb08e, -v87
	v_fma_f16 v214, v216, 0xb93d, -v213
	v_add_f16_e64 v193, v224, v193
	v_add_f16_e32 v10, v49, v10
	v_add_f16_e32 v74, v74, v80
	v_add_f16_e64 v89, v223, v89
	v_mul_f16_e64 v223, 0xbbeb, v197
	v_add_f16_e64 v80, v83, v191
	v_fma_f16 v49, 0x3abb, v230, v231
	v_mul_f16_e64 v232, 0xba0c, v226
	v_add_f16_e64 v89, v214, v89
	v_fma_f16 v224, 0xb08e, v198, v223
	v_mul_f16_e64 v214, 0xba0c, v218
	v_mul_f16_e64 v83, 0xb482, v226
	v_add_f16_e32 v80, v80, v91
	v_mul_f16_e64 v91, 0xb482, v229
	v_add_f16_e64 v193, v224, v193
	v_fma_f16 v224, 0xb93d, v219, v214
	v_add_f16_e32 v11, v49, v11
	v_fma_f16 v49, v227, 0xb93d, -v232
	v_mul_f16_e64 v233, 0xba0c, v229
	v_fma_f16 v191, v227, 0xbbad, -v83
	v_add_f16_e64 v193, v224, v193
	v_add_f16_e32 v74, v74, v99
	v_fma_f16 v99, 0xbbad, v230, v91
	v_add_f16_e32 v44, v49, v44
	v_fma_f16 v49, 0xb93d, v230, v233
	v_add_f16_e64 v89, v191, v89
	v_add_f16_e32 v74, v74, v76
	v_add_f16_e64 v99, v99, v193
	v_add_f16_e32 v76, v80, v90
	v_add_f16_e32 v49, v49, v50
	v_pack_b32_f16 v234, v10, v11
	v_fmac_f16_e64 v228, 0x3abb, v227
	v_pack_b32_f16 v80, v89, v99
	v_pack_b32_f16 v74, v74, v76
	;; [unrolled: 1-line block ×3, first 2 shown]
	ds_load_b32 v44, v207 offset:6528
	s_clause 0x1
	global_load_b64 v[202:203], v[8:9], off offset:168
	global_load_b128 v[8:11], v[8:9], off offset:152
	ds_load_2addr_b32 v[57:58], v207 offset0:204 offset1:255
	ds_load_2addr_b32 v[55:56], v92 offset0:126 offset1:177
	ds_load_2addr_b32 v[53:54], v94 offset0:48 offset1:99
	ds_load_2addr_b32 v[51:52], v86 offset0:98 offset1:149
	ds_load_2addr_b32 v[49:50], v93 offset0:148 offset1:199
	s_waitcnt vmcnt(0) lgkmcnt(0)
	s_barrier
	buffer_gl0_inv
	ds_store_2addr_b32 v207, v74, v80 offset1:51
	v_mul_f16_e32 v74, 0xba0c, v100
	v_mul_f16_e32 v80, 0x3beb, v103
	v_mul_f16_e64 v99, 0x3beb, v184
	v_mul_f16_e32 v100, 0xb482, v100
	v_mul_f16_e32 v103, 0x3853, v103
	v_fma_f16 v76, v101, 0xb93d, -v74
	v_fma_f16 v89, v158, 0xb08e, -v80
	v_fma_f16 v191, 0xb08e, v185, v99
	v_mul_f16_e64 v184, 0x3853, v184
	v_fma_f16 v193, v158, 0x3abb, -v103
	v_add_f16_e32 v76, v78, v76
	ds_store_2addr_b32 v207, v234, v235 offset0:102 offset1:153
	v_fmac_f16_e32 v74, 0xb93d, v101
	v_fma_f16 v224, 0x3abb, v185, v184
	v_fmac_f16_e64 v80, 0xb08e, v158
	v_add_f16_e32 v76, v89, v76
	v_mul_f16_e64 v89, 0xba0c, v178
	v_mul_f16_e64 v178, 0xb482, v178
	v_add_f16_e32 v74, v78, v74
	v_fmac_f16_e64 v103, 0x3abb, v158
	v_fmac_f16_e64 v232, 0xb93d, v227
	v_fma_f16 v90, 0xb93d, v179, v89
	v_fmac_f16_e64 v87, 0xb08e, v195
	v_add_f16_e32 v74, v80, v74
	v_fma_f16 v80, v185, 0xb08e, -v99
	v_fmac_f16_e64 v213, 0xb93d, v216
	v_add_f16_e64 v90, v183, v90
	v_fmac_f16_e64 v83, 0xbbad, v227
	v_lshrrev_b32_e32 v99, 16, v88
	s_delay_alu instid0(VALU_DEP_3) | instskip(SKIP_3) | instid1(VALU_DEP_3)
	v_add_f16_e64 v90, v191, v90
	v_fma_f16 v191, v101, 0xbbad, -v100
	v_fmac_f16_e32 v100, 0xbbad, v101
	v_fma_f16 v101, v185, 0x36a6, -v212
	v_add_f16_e64 v191, v78, v191
	v_lshrrev_b32_e32 v133, 16, v4
	s_delay_alu instid0(VALU_DEP_2) | instskip(SKIP_1) | instid1(VALU_DEP_1)
	v_add_f16_e64 v191, v193, v191
	v_fma_f16 v193, 0xbbad, v179, v178
	v_add_f16_e64 v193, v183, v193
	s_delay_alu instid0(VALU_DEP_1) | instskip(SKIP_2) | instid1(VALU_DEP_2)
	v_add_f16_e64 v193, v224, v193
	v_mul_f16_e64 v224, 0xb853, v194
	v_mul_f16_e64 v194, 0xba0c, v194
	v_fma_f16 v225, v195, 0x3abb, -v224
	v_fmac_f16_e64 v224, 0x3abb, v195
	s_delay_alu instid0(VALU_DEP_2) | instskip(SKIP_2) | instid1(VALU_DEP_4)
	v_add_f16_e64 v76, v225, v76
	v_mul_f16_e64 v225, 0xb853, v197
	v_mul_f16_e64 v197, 0xba0c, v197
	v_add_f16_e64 v74, v224, v74
	s_delay_alu instid0(VALU_DEP_3) | instskip(NEXT) | instid1(VALU_DEP_1)
	v_fma_f16 v234, 0x3abb, v198, v225
	v_add_f16_e64 v90, v234, v90
	v_fma_f16 v234, v195, 0xb93d, -v194
	v_fmac_f16_e64 v194, 0xb93d, v195
	s_delay_alu instid0(VALU_DEP_2) | instskip(SKIP_1) | instid1(VALU_DEP_1)
	v_add_f16_e64 v191, v234, v191
	v_fma_f16 v234, 0xb93d, v198, v197
	v_add_f16_e64 v193, v234, v193
	v_mul_f16_e64 v234, 0xb482, v215
	v_mul_f16_e64 v215, 0x3b47, v215
	s_delay_alu instid0(VALU_DEP_2) | instskip(SKIP_1) | instid1(VALU_DEP_2)
	v_fma_f16 v235, v216, 0xbbad, -v234
	v_fmac_f16_e64 v234, 0xbbad, v216
	v_add_f16_e64 v76, v235, v76
	v_mul_f16_e64 v235, 0xb482, v218
	v_mul_f16_e64 v218, 0x3b47, v218
	s_delay_alu instid0(VALU_DEP_4) | instskip(NEXT) | instid1(VALU_DEP_3)
	v_add_f16_e64 v74, v234, v74
	v_fma_f16 v236, 0xbbad, v219, v235
	s_delay_alu instid0(VALU_DEP_1) | instskip(SKIP_2) | instid1(VALU_DEP_2)
	v_add_f16_e64 v90, v236, v90
	v_fma_f16 v236, v216, 0x36a6, -v215
	v_fmac_f16_e64 v215, 0x36a6, v216
	v_add_f16_e64 v191, v236, v191
	v_fma_f16 v236, 0x36a6, v219, v218
	s_delay_alu instid0(VALU_DEP_1) | instskip(SKIP_2) | instid1(VALU_DEP_2)
	v_add_f16_e64 v193, v236, v193
	v_mul_f16_e64 v236, 0x3b47, v226
	v_mul_f16_e64 v226, 0xbbeb, v226
	v_fma_f16 v237, v227, 0x36a6, -v236
	v_fmac_f16_e64 v236, 0x36a6, v227
	s_delay_alu instid0(VALU_DEP_2) | instskip(SKIP_2) | instid1(VALU_DEP_4)
	v_add_f16_e64 v76, v237, v76
	v_mul_f16_e64 v237, 0x3b47, v229
	v_mul_f16_e64 v229, 0xbbeb, v229
	v_add_f16_e64 v74, v236, v74
	s_delay_alu instid0(VALU_DEP_3) | instskip(NEXT) | instid1(VALU_DEP_1)
	v_fma_f16 v238, 0x36a6, v230, v237
	v_add_f16_e64 v90, v238, v90
	v_fma_f16 v238, v227, 0xb08e, -v226
	v_fmac_f16_e64 v226, 0xb08e, v227
	s_delay_alu instid0(VALU_DEP_3) | instskip(NEXT) | instid1(VALU_DEP_3)
	v_pack_b32_f16 v76, v76, v90
	v_add_f16_e64 v191, v238, v191
	v_fma_f16 v238, 0xb08e, v230, v229
	s_delay_alu instid0(VALU_DEP_1) | instskip(NEXT) | instid1(VALU_DEP_1)
	v_add_f16_e64 v193, v238, v193
	v_pack_b32_f16 v90, v191, v193
	ds_store_2addr_b32 v207, v76, v90 offset0:204 offset1:255
	v_fma_f16 v76, v179, 0xb93d, -v89
	v_fma_f16 v89, v179, 0xbbad, -v178
	;; [unrolled: 1-line block ×3, first 2 shown]
	v_mul_f16_e64 v184, v51, v167
	s_delay_alu instid0(VALU_DEP_4) | instskip(NEXT) | instid1(VALU_DEP_4)
	v_add_f16_e64 v76, v183, v76
	v_add_f16_e64 v89, v183, v89
	s_delay_alu instid0(VALU_DEP_2) | instskip(NEXT) | instid1(VALU_DEP_2)
	v_add_f16_e32 v76, v80, v76
	v_add_f16_e32 v89, v90, v89
	v_fma_f16 v90, v198, 0x3abb, -v225
	v_add_f16_e32 v80, v78, v100
	v_mul_f16_e32 v100, v99, v20
	s_delay_alu instid0(VALU_DEP_3) | instskip(SKIP_1) | instid1(VALU_DEP_4)
	v_add_f16_e32 v76, v90, v76
	v_fma_f16 v90, v198, 0xb93d, -v197
	v_add_f16_e32 v80, v103, v80
	s_delay_alu instid0(VALU_DEP_4) | instskip(SKIP_1) | instid1(VALU_DEP_4)
	v_fma_f16 v100, v88, v1, -v100
	v_mul_f16_e32 v88, v88, v20
	v_add_f16_e32 v89, v90, v89
	v_fma_f16 v90, v219, 0xbbad, -v235
	v_add_f16_e64 v80, v194, v80
	s_delay_alu instid0(VALU_DEP_4) | instskip(NEXT) | instid1(VALU_DEP_3)
	v_fmac_f16_e32 v88, v99, v1
	v_add_f16_e32 v76, v90, v76
	v_fma_f16 v90, v219, 0x36a6, -v218
	s_delay_alu instid0(VALU_DEP_4) | instskip(NEXT) | instid1(VALU_DEP_2)
	v_add_f16_e64 v80, v215, v80
	v_add_f16_e32 v89, v90, v89
	v_fma_f16 v90, v230, 0xb08e, -v229
	s_delay_alu instid0(VALU_DEP_3) | instskip(NEXT) | instid1(VALU_DEP_2)
	v_add_f16_e64 v80, v226, v80
	v_add_f16_e32 v89, v90, v89
	v_fma_f16 v90, v230, 0x36a6, -v237
	s_delay_alu instid0(VALU_DEP_2) | instskip(NEXT) | instid1(VALU_DEP_2)
	v_pack_b32_f16 v80, v80, v89
	v_add_f16_e32 v76, v90, v76
	v_fma_f16 v89, v179, 0xb08e, -v189
	v_fma_f16 v90, v185, 0xbbad, -v190
	s_delay_alu instid0(VALU_DEP_3) | instskip(SKIP_1) | instid1(VALU_DEP_4)
	v_pack_b32_f16 v74, v74, v76
	v_fma_f16 v76, v179, 0x36a6, -v180
	v_add_f16_e64 v89, v183, v89
	v_lshrrev_b32_e32 v180, 16, v53
	ds_store_2addr_b32 v96, v80, v74 offset0:50 offset1:101
	v_add_f16_e64 v76, v183, v76
	v_fma_f16 v80, v185, 0xb93d, -v186
	v_add_f16_e32 v89, v90, v89
	v_fma_f16 v90, v198, 0xbbad, -v199
	v_add_f16_e32 v74, v78, v102
	v_mul_f16_e64 v185, v49, v67
	v_add_f16_e32 v76, v80, v76
	v_add_f16_e64 v80, v78, v187
	v_add_f16_e32 v78, v78, v85
	v_add_f16_e64 v74, v177, v74
	s_delay_alu instid0(VALU_DEP_4) | instskip(SKIP_2) | instid1(VALU_DEP_4)
	v_add_f16_e32 v76, v90, v76
	v_fma_f16 v90, v198, 0x36a6, -v211
	v_add_f16_e64 v80, v188, v80
	v_add_f16_e64 v74, v196, v74
	v_add_f16_e32 v78, v98, v78
	v_lshrrev_b32_e32 v98, 16, v81
	v_add_f16_e32 v89, v90, v89
	v_fma_f16 v90, v219, 0xb08e, -v220
	v_add_f16_e64 v80, v210, v80
	v_add_f16_e64 v74, v217, v74
	v_add_f16_e32 v78, v87, v78
	v_fma_f16 v87, v219, 0xb93d, -v214
	v_add_f16_e32 v76, v90, v76
	v_fma_f16 v90, v219, 0x3abb, -v222
	v_add_f16_e64 v80, v221, v80
	v_add_f16_e64 v74, v228, v74
	s_delay_alu instid0(VALU_DEP_3) | instskip(SKIP_1) | instid1(VALU_DEP_4)
	v_add_f16_e32 v89, v90, v89
	v_fma_f16 v90, v230, 0xb93d, -v233
	v_add_f16_e64 v80, v232, v80
	s_delay_alu instid0(VALU_DEP_2) | instskip(SKIP_1) | instid1(VALU_DEP_2)
	v_add_f16_e32 v89, v90, v89
	v_fma_f16 v90, v230, 0x3abb, -v231
	v_pack_b32_f16 v80, v80, v89
	s_delay_alu instid0(VALU_DEP_2) | instskip(SKIP_2) | instid1(VALU_DEP_3)
	v_add_f16_e32 v76, v90, v76
	v_fma_f16 v90, v179, 0x3abb, -v192
	v_mul_f16_e64 v179, v55, v42
	v_pack_b32_f16 v74, v74, v76
	s_delay_alu instid0(VALU_DEP_3)
	v_add_f16_e64 v90, v183, v90
	v_mul_f16_e64 v183, v53, v209
	ds_store_2addr_b32 v96, v80, v74 offset0:152 offset1:203
	v_lshrrev_b32_e32 v74, 16, v75
	v_lshrrev_b32_e32 v80, 16, v84
	v_add_f16_e32 v85, v101, v90
	v_fma_f16 v90, v198, 0xb08e, -v223
	v_mul_f16_e64 v101, v98, v205
	v_mul_f16_e32 v76, v74, v41
	v_mul_f16_e32 v89, v80, v104
	v_fmac_f16_e64 v183, v180, v0
	v_add_f16_e32 v85, v90, v85
	v_lshrrev_b32_e32 v90, 16, v77
	v_fma_f16 v76, v75, v13, -v76
	v_mul_f16_e32 v75, v75, v41
	v_fma_f16 v89, v84, v15, -v89
	v_mul_f16_e32 v84, v84, v104
	v_mul_f16_e32 v102, v90, v68
	v_fma_f16 v101, v81, v3, -v101
	v_fmac_f16_e32 v75, v74, v13
	v_add_f16_e64 v74, v213, v78
	v_fmac_f16_e32 v84, v80, v15
	v_add_f16_e32 v78, v87, v85
	v_fma_f16 v80, v230, 0xbbad, -v91
	v_fma_f16 v102, v77, v66, -v102
	v_mul_f16_e32 v77, v77, v68
	v_add_f16_e32 v74, v83, v74
	v_mul_f16_e64 v83, v57, v208
	v_add_f16_e32 v78, v80, v78
	v_lshrrev_b32_e32 v80, 16, v57
	v_fmac_f16_e32 v77, v90, v66
	v_mul_f16_e64 v81, v81, v205
	v_mul_f16_e64 v180, v180, v209
	v_pack_b32_f16 v74, v74, v78
	v_fmac_f16_e32 v83, v80, v12
	v_mul_f16_e64 v80, v80, v208
	v_fmac_f16_e32 v81, v98, v3
	v_lshrrev_b32_e32 v78, 16, v55
	v_fma_f16 v53, v53, v0, -v180
	v_lshrrev_b32_e32 v180, 16, v51
	v_fma_f16 v57, v57, v12, -v80
	v_sub_f16_e32 v80, v83, v77
	v_fmac_f16_e64 v179, v78, v14
	v_mul_f16_e32 v78, v78, v42
	v_fmac_f16_e64 v184, v180, v2
	v_add_f16_e32 v85, v57, v102
	v_mul_f16_e32 v87, 0xb853, v80
	v_mul_f16_e32 v91, 0xbb47, v80
	;; [unrolled: 1-line block ×5, first 2 shown]
	v_fma_f16 v90, v85, 0x3abb, -v87
	v_fmac_f16_e32 v87, 0x3abb, v85
	v_fma_f16 v98, v85, 0x36a6, -v91
	v_fmac_f16_e32 v91, 0x36a6, v85
	;; [unrolled: 2-line block ×5, first 2 shown]
	v_add_f16_e32 v85, v79, v90
	v_add_f16_e32 v87, v79, v87
	;; [unrolled: 1-line block ×4, first 2 shown]
	v_add_f16_e64 v98, v79, v158
	v_add_f16_e32 v99, v79, v99
	v_add_f16_e64 v158, v79, v177
	v_add_f16_e32 v103, v79, v103
	;; [unrolled: 2-line block ×3, first 2 shown]
	v_lshrrev_b32_e32 v178, 16, v79
	v_add_f16_e32 v79, v79, v57
	v_fma_f16 v55, v55, v14, -v78
	v_mul_f16_e64 v180, v180, v167
	v_sub_f16_e32 v57, v57, v102
	v_lshrrev_b32_e32 v181, 16, v203
	v_add_f16_e32 v78, v79, v76
	v_add_f16_e64 v79, v178, v83
	v_fma_f16 v51, v51, v2, -v180
	v_lshrrev_b32_e32 v180, 16, v49
	v_lshrrev_b32_e32 v204, 16, v9
	v_add_f16_e32 v78, v78, v55
	v_add_f16_e32 v79, v79, v75
	v_lshrrev_b32_e32 v235, 16, v11
	v_fmac_f16_e64 v185, v180, v65
	v_mul_f16_e64 v180, v180, v67
	v_add_f16_e32 v78, v78, v89
	v_add_f16_e64 v79, v79, v179
	s_delay_alu instid0(VALU_DEP_3) | instskip(NEXT) | instid1(VALU_DEP_3)
	v_fma_f16 v49, v49, v65, -v180
	v_add_f16_e32 v78, v78, v53
	s_delay_alu instid0(VALU_DEP_3) | instskip(NEXT) | instid1(VALU_DEP_2)
	v_add_f16_e32 v79, v79, v84
	v_add_f16_e32 v78, v78, v100
	s_delay_alu instid0(VALU_DEP_2) | instskip(NEXT) | instid1(VALU_DEP_2)
	v_add_f16_e64 v79, v79, v183
	v_add_f16_e32 v78, v78, v51
	s_delay_alu instid0(VALU_DEP_2) | instskip(NEXT) | instid1(VALU_DEP_2)
	v_add_f16_e32 v79, v79, v88
	v_add_f16_e32 v78, v78, v101
	s_delay_alu instid0(VALU_DEP_2) | instskip(NEXT) | instid1(VALU_DEP_2)
	v_add_f16_e64 v79, v79, v184
	v_add_f16_e32 v78, v78, v49
	s_delay_alu instid0(VALU_DEP_2) | instskip(NEXT) | instid1(VALU_DEP_2)
	v_add_f16_e32 v79, v79, v81
	v_add_f16_e32 v78, v78, v102
	s_delay_alu instid0(VALU_DEP_2) | instskip(NEXT) | instid1(VALU_DEP_1)
	v_add_f16_e64 v79, v79, v185
	v_add_f16_e32 v79, v79, v77
	s_delay_alu instid0(VALU_DEP_1)
	v_pack_b32_f16 v78, v78, v79
	ds_store_2addr_b32 v92, v74, v78 offset0:126 offset1:177
	v_add_f16_e32 v74, v83, v77
	v_add_f16_e32 v77, v76, v49
	v_sub_f16_e32 v49, v76, v49
	v_sub_f16_e64 v76, v75, v185
	v_mul_f16_e32 v83, 0xb853, v57
	v_add_f16_e64 v75, v75, v185
	s_delay_alu instid0(VALU_DEP_4) | instskip(NEXT) | instid1(VALU_DEP_4)
	v_mul_f16_e32 v102, 0xbb47, v49
	v_mul_f16_e32 v78, 0xbb47, v76
	v_mul_f16_e64 v187, 0xba0c, v49
	v_mul_f16_e64 v213, 0x3beb, v49
	s_delay_alu instid0(VALU_DEP_4) | instskip(NEXT) | instid1(VALU_DEP_4)
	v_fma_f16 v180, 0x36a6, v75, v102
	v_fma_f16 v79, v77, 0x36a6, -v78
	s_delay_alu instid0(VALU_DEP_4) | instskip(NEXT) | instid1(VALU_DEP_4)
	v_fma_f16 v188, 0xb93d, v75, v187
	v_fma_f16 v214, 0xb08e, v75, v213
	v_fmac_f16_e32 v78, 0x36a6, v77
	s_delay_alu instid0(VALU_DEP_4) | instskip(SKIP_1) | instid1(VALU_DEP_1)
	v_add_f16_e32 v79, v79, v85
	v_fmamk_f16 v85, v74, 0x3abb, v83
	v_add_f16_e64 v85, v178, v85
	s_delay_alu instid0(VALU_DEP_1) | instskip(SKIP_1) | instid1(VALU_DEP_1)
	v_add_f16_e64 v85, v180, v85
	v_mul_f16_e64 v180, 0xba0c, v76
	v_fma_f16 v185, v77, 0xb93d, -v180
	v_fmac_f16_e64 v180, 0xb93d, v77
	s_delay_alu instid0(VALU_DEP_2) | instskip(SKIP_1) | instid1(VALU_DEP_1)
	v_add_f16_e64 v90, v185, v90
	v_mul_f16_e64 v185, 0xbb47, v57
	v_fma_f16 v186, 0x36a6, v74, v185
	s_delay_alu instid0(VALU_DEP_1) | instskip(NEXT) | instid1(VALU_DEP_1)
	v_add_f16_e64 v186, v178, v186
	v_add_f16_e64 v186, v188, v186
	v_sub_f16_e64 v188, v55, v101
	v_add_f16_e32 v55, v55, v101
	v_sub_f16_e64 v101, v179, v81
	v_add_f16_e64 v81, v179, v81
	s_delay_alu instid0(VALU_DEP_2) | instskip(NEXT) | instid1(VALU_DEP_1)
	v_mul_f16_e64 v179, 0xbbeb, v101
	v_fma_f16 v189, v55, 0xb08e, -v179
	v_fmac_f16_e64 v179, 0xb08e, v55
	s_delay_alu instid0(VALU_DEP_2) | instskip(SKIP_1) | instid1(VALU_DEP_1)
	v_add_f16_e64 v79, v189, v79
	v_mul_f16_e64 v189, 0xbbeb, v188
	v_fma_f16 v190, 0xb08e, v81, v189
	s_delay_alu instid0(VALU_DEP_1) | instskip(SKIP_1) | instid1(VALU_DEP_1)
	v_add_f16_e64 v85, v190, v85
	v_mul_f16_e64 v190, 0x3482, v101
	v_fma_f16 v191, v55, 0xbbad, -v190
	v_fmac_f16_e64 v190, 0xbbad, v55
	s_delay_alu instid0(VALU_DEP_2) | instskip(SKIP_1) | instid1(VALU_DEP_1)
	v_add_f16_e64 v90, v191, v90
	v_mul_f16_e64 v191, 0x3482, v188
	v_fma_f16 v192, 0xbbad, v81, v191
	s_delay_alu instid0(VALU_DEP_1) | instskip(SKIP_4) | instid1(VALU_DEP_2)
	v_add_f16_e64 v186, v192, v186
	v_add_f16_e64 v192, v89, v51
	v_sub_f16_e32 v51, v89, v51
	v_sub_f16_e64 v89, v84, v184
	v_add_f16_e64 v84, v84, v184
	v_mul_f16_e64 v184, 0xba0c, v89
	s_delay_alu instid0(VALU_DEP_1) | instskip(SKIP_1) | instid1(VALU_DEP_2)
	v_fma_f16 v193, v192, 0xb93d, -v184
	v_fmac_f16_e64 v184, 0xb93d, v192
	v_add_f16_e64 v79, v193, v79
	v_mul_f16_e64 v193, 0xba0c, v51
	s_delay_alu instid0(VALU_DEP_1) | instskip(NEXT) | instid1(VALU_DEP_1)
	v_fma_f16 v194, 0xb93d, v84, v193
	v_add_f16_e64 v85, v194, v85
	v_mul_f16_e64 v194, 0x3beb, v89
	s_delay_alu instid0(VALU_DEP_1) | instskip(SKIP_1) | instid1(VALU_DEP_2)
	v_fma_f16 v195, v192, 0xb08e, -v194
	v_fmac_f16_e64 v194, 0xb08e, v192
	v_add_f16_e64 v90, v195, v90
	v_mul_f16_e64 v195, 0x3beb, v51
	s_delay_alu instid0(VALU_DEP_1) | instskip(NEXT) | instid1(VALU_DEP_1)
	v_fma_f16 v196, 0xb08e, v84, v195
	v_add_f16_e64 v186, v196, v186
	v_add_f16_e64 v196, v53, v100
	v_sub_f16_e32 v53, v53, v100
	v_sub_f16_e64 v100, v183, v88
	v_add_f16_e64 v88, v183, v88
	s_delay_alu instid0(VALU_DEP_2) | instskip(NEXT) | instid1(VALU_DEP_1)
	v_mul_f16_e64 v183, 0xb482, v100
	v_fma_f16 v197, v196, 0xbbad, -v183
	v_fmac_f16_e64 v183, 0xbbad, v196
	s_delay_alu instid0(VALU_DEP_2) | instskip(SKIP_1) | instid1(VALU_DEP_1)
	v_add_f16_e64 v79, v197, v79
	v_mul_f16_e64 v197, 0xb482, v53
	v_fma_f16 v198, 0xbbad, v88, v197
	s_delay_alu instid0(VALU_DEP_1) | instskip(SKIP_1) | instid1(VALU_DEP_2)
	v_add_f16_e64 v85, v198, v85
	v_mul_f16_e64 v198, 0x3853, v100
	v_pack_b32_f16 v79, v79, v85
	s_delay_alu instid0(VALU_DEP_2) | instskip(SKIP_1) | instid1(VALU_DEP_2)
	v_fma_f16 v199, v196, 0x3abb, -v198
	v_fmac_f16_e64 v198, 0x3abb, v196
	v_add_f16_e64 v90, v199, v90
	v_mul_f16_e64 v199, 0x3853, v53
	s_delay_alu instid0(VALU_DEP_1) | instskip(NEXT) | instid1(VALU_DEP_1)
	v_fma_f16 v210, 0x3abb, v88, v199
	v_add_f16_e64 v186, v210, v186
	s_delay_alu instid0(VALU_DEP_1)
	v_pack_b32_f16 v85, v90, v186
	v_mul_f16_e32 v90, 0xbbeb, v57
	v_mul_f16_e64 v186, 0x3482, v49
	v_mul_f16_e32 v49, 0x3853, v49
	ds_store_2addr_b32 v82, v79, v85 offset0:100 offset1:151
	v_mul_f16_e32 v79, 0x3482, v76
	v_fma_f16 v210, 0xbbad, v75, v186
	s_delay_alu instid0(VALU_DEP_2) | instskip(SKIP_1) | instid1(VALU_DEP_2)
	v_fma_f16 v85, v77, 0xbbad, -v79
	v_fmac_f16_e32 v79, 0xbbad, v77
	v_add_f16_e32 v85, v85, v98
	v_fmamk_f16 v98, v74, 0xb08e, v90
	s_delay_alu instid0(VALU_DEP_1) | instskip(NEXT) | instid1(VALU_DEP_1)
	v_add_f16_e64 v98, v178, v98
	v_add_f16_e64 v98, v210, v98
	v_mul_f16_e64 v210, 0x3beb, v76
	v_mul_f16_e32 v76, 0x3853, v76
	s_delay_alu instid0(VALU_DEP_2) | instskip(SKIP_1) | instid1(VALU_DEP_2)
	v_fma_f16 v211, v77, 0xb08e, -v210
	v_fmac_f16_e64 v210, 0xb08e, v77
	v_add_f16_e64 v158, v211, v158
	v_mul_f16_e64 v211, 0xba0c, v57
	v_mul_f16_e32 v57, 0xb482, v57
	s_delay_alu instid0(VALU_DEP_2) | instskip(NEXT) | instid1(VALU_DEP_1)
	v_fma_f16 v212, 0xb93d, v74, v211
	v_add_f16_e64 v212, v178, v212
	s_delay_alu instid0(VALU_DEP_1) | instskip(SKIP_1) | instid1(VALU_DEP_1)
	v_add_f16_e64 v212, v214, v212
	v_mul_f16_e64 v214, 0x3b47, v101
	v_fma_f16 v215, v55, 0x36a6, -v214
	v_fmac_f16_e64 v214, 0x36a6, v55
	s_delay_alu instid0(VALU_DEP_2) | instskip(SKIP_1) | instid1(VALU_DEP_1)
	v_add_f16_e64 v85, v215, v85
	v_mul_f16_e64 v215, 0x3b47, v188
	v_fma_f16 v216, 0x36a6, v81, v215
	s_delay_alu instid0(VALU_DEP_1) | instskip(SKIP_1) | instid1(VALU_DEP_1)
	v_add_f16_e64 v98, v216, v98
	v_mul_f16_e64 v216, 0xb853, v101
	v_fma_f16 v217, v55, 0x3abb, -v216
	v_fmac_f16_e64 v216, 0x3abb, v55
	s_delay_alu instid0(VALU_DEP_2) | instskip(SKIP_1) | instid1(VALU_DEP_1)
	v_add_f16_e64 v158, v217, v158
	v_mul_f16_e64 v217, 0xb853, v188
	v_fma_f16 v218, 0x3abb, v81, v217
	;; [unrolled: 9-line block ×3, first 2 shown]
	s_delay_alu instid0(VALU_DEP_1) | instskip(SKIP_1) | instid1(VALU_DEP_1)
	v_add_f16_e64 v98, v220, v98
	v_mul_f16_e64 v220, 0xb482, v89
	v_fma_f16 v221, v192, 0xbbad, -v220
	v_fmac_f16_e64 v220, 0xbbad, v192
	s_delay_alu instid0(VALU_DEP_2) | instskip(SKIP_2) | instid1(VALU_DEP_2)
	v_add_f16_e64 v158, v221, v158
	v_mul_f16_e64 v221, 0xb482, v51
	v_mul_f16_e32 v51, 0x3b47, v51
	v_fma_f16 v222, 0xbbad, v84, v221
	s_delay_alu instid0(VALU_DEP_1) | instskip(SKIP_1) | instid1(VALU_DEP_1)
	v_add_f16_e64 v212, v222, v212
	v_mul_f16_e64 v222, 0xba0c, v100
	v_fma_f16 v223, v196, 0xb93d, -v222
	v_fmac_f16_e64 v222, 0xb93d, v196
	s_delay_alu instid0(VALU_DEP_2) | instskip(SKIP_1) | instid1(VALU_DEP_1)
	v_add_f16_e64 v85, v223, v85
	v_mul_f16_e64 v223, 0xba0c, v53
	v_fma_f16 v224, 0xb93d, v88, v223
	s_delay_alu instid0(VALU_DEP_1) | instskip(SKIP_1) | instid1(VALU_DEP_2)
	v_add_f16_e64 v98, v224, v98
	v_mul_f16_e64 v224, 0x3b47, v100
	v_pack_b32_f16 v85, v85, v98
	s_delay_alu instid0(VALU_DEP_2) | instskip(SKIP_1) | instid1(VALU_DEP_2)
	v_fma_f16 v225, v196, 0x36a6, -v224
	v_fmac_f16_e64 v224, 0x36a6, v196
	v_add_f16_e64 v158, v225, v158
	v_mul_f16_e64 v225, 0x3b47, v53
	v_mul_f16_e32 v53, 0xbbeb, v53
	s_delay_alu instid0(VALU_DEP_2) | instskip(NEXT) | instid1(VALU_DEP_1)
	v_fma_f16 v226, 0x36a6, v88, v225
	v_add_f16_e64 v212, v226, v212
	s_delay_alu instid0(VALU_DEP_1)
	v_pack_b32_f16 v98, v158, v212
	v_fma_f16 v158, 0x3abb, v75, v49
	v_fma_f16 v49, v75, 0x3abb, -v49
	ds_store_2addr_b32 v82, v85, v98 offset0:202 offset1:253
	v_fmamk_f16 v98, v74, 0xbbad, v57
	v_fma_f16 v57, v74, 0xbbad, -v57
	v_fma_f16 v85, v77, 0x3abb, -v76
	v_fmac_f16_e32 v76, 0x3abb, v77
	v_lshrrev_b32_e32 v77, 16, v54
	v_add_f16_e64 v98, v178, v98
	v_add_f16_e64 v57, v178, v57
	;; [unrolled: 1-line block ×3, first 2 shown]
	v_add_f16_e32 v76, v76, v80
	s_delay_alu instid0(VALU_DEP_4) | instskip(NEXT) | instid1(VALU_DEP_4)
	v_add_f16_e64 v98, v158, v98
	v_add_f16_e32 v49, v49, v57
	v_mul_f16_e32 v57, 0xba0c, v101
	s_delay_alu instid0(VALU_DEP_1) | instskip(SKIP_2) | instid1(VALU_DEP_3)
	v_fma_f16 v80, v55, 0xb93d, -v57
	v_fmac_f16_e32 v57, 0xb93d, v55
	v_fma_f16 v55, v81, 0xb08e, -v189
	v_add_f16_e32 v80, v80, v85
	v_mul_f16_e64 v85, 0xba0c, v188
	s_delay_alu instid0(VALU_DEP_4) | instskip(NEXT) | instid1(VALU_DEP_2)
	v_add_f16_e32 v57, v57, v76
	v_fma_f16 v76, v81, 0xb93d, -v85
	v_fmamk_f16 v101, v81, 0xb93d, v85
	s_delay_alu instid0(VALU_DEP_2) | instskip(SKIP_1) | instid1(VALU_DEP_3)
	v_add_f16_e32 v49, v76, v49
	v_mul_f16_e32 v76, 0x3b47, v89
	v_add_f16_e32 v98, v101, v98
	s_delay_alu instid0(VALU_DEP_2) | instskip(SKIP_1) | instid1(VALU_DEP_2)
	v_fma_f16 v85, v192, 0x36a6, -v76
	v_fmac_f16_e64 v76, 0x36a6, v192
	v_add_f16_e32 v80, v85, v80
	v_fmamk_f16 v85, v84, 0x36a6, v51
	v_fma_f16 v51, v84, 0x36a6, -v51
	s_delay_alu instid0(VALU_DEP_4) | instskip(NEXT) | instid1(VALU_DEP_3)
	v_add_f16_e32 v57, v76, v57
	v_add_f16_e32 v85, v85, v98
	s_delay_alu instid0(VALU_DEP_3) | instskip(SKIP_1) | instid1(VALU_DEP_1)
	v_add_f16_e32 v49, v51, v49
	v_mul_f16_e32 v51, 0xbbeb, v100
	v_fma_f16 v76, v196, 0xb08e, -v51
	v_fmac_f16_e64 v51, 0xb08e, v196
	s_delay_alu instid0(VALU_DEP_2) | instskip(SKIP_2) | instid1(VALU_DEP_4)
	v_add_f16_e32 v76, v76, v80
	v_fmamk_f16 v80, v88, 0xb08e, v53
	v_fma_f16 v53, v88, 0xb08e, -v53
	v_add_f16_e32 v51, v51, v57
	v_fma_f16 v57, v74, 0xb93d, -v211
	s_delay_alu instid0(VALU_DEP_4) | instskip(NEXT) | instid1(VALU_DEP_4)
	v_add_f16_e32 v80, v80, v85
	v_add_f16_e32 v49, v53, v49
	s_delay_alu instid0(VALU_DEP_3) | instskip(NEXT) | instid1(VALU_DEP_3)
	v_add_f16_e64 v57, v178, v57
	v_pack_b32_f16 v53, v76, v80
	s_delay_alu instid0(VALU_DEP_3)
	v_pack_b32_f16 v49, v51, v49
	v_fma_f16 v51, v74, 0xb08e, -v90
	v_fma_f16 v76, v75, 0xb08e, -v213
	v_lshrrev_b32_e32 v213, 16, v8
	ds_store_2addr_b32 v94, v53, v49 offset0:48 offset1:99
	v_add_f16_e64 v51, v178, v51
	v_fma_f16 v53, v75, 0xbbad, -v186
	v_add_f16_e32 v57, v76, v57
	v_fma_f16 v76, v81, 0x36a6, -v215
	v_add_f16_e32 v49, v79, v99
	v_lshrrev_b32_e32 v79, 16, v47
	v_add_f16_e32 v51, v53, v51
	v_add_f16_e64 v53, v210, v103
	v_lshrrev_b32_e32 v210, 16, v202
	v_add_f16_e64 v49, v214, v49
	v_lshrrev_b32_e32 v214, 16, v7
	v_add_f16_e32 v51, v76, v51
	v_fma_f16 v76, v81, 0x3abb, -v217
	v_add_f16_e64 v53, v216, v53
	v_add_f16_e64 v49, v218, v49
	v_lshrrev_b32_e32 v217, 16, v5
	v_lshrrev_b32_e32 v216, 16, v6
	v_add_f16_e32 v57, v76, v57
	v_fma_f16 v76, v84, 0x3abb, -v219
	v_add_f16_e64 v53, v220, v53
	v_add_f16_e64 v49, v222, v49
	v_mul_f16_e64 v80, v79, v204
	v_lshrrev_b32_e32 v219, 16, v10
	v_add_f16_e32 v51, v76, v51
	v_fma_f16 v76, v84, 0xbbad, -v221
	v_add_f16_e64 v53, v224, v53
	v_fma_f16 v80, v47, v9, -v80
	v_mul_f16_e64 v47, v47, v204
	s_delay_alu instid0(VALU_DEP_4) | instskip(SKIP_1) | instid1(VALU_DEP_3)
	v_add_f16_e32 v57, v76, v57
	v_fma_f16 v76, v88, 0x36a6, -v225
	v_fmac_f16_e32 v47, v79, v9
	s_delay_alu instid0(VALU_DEP_2) | instskip(SKIP_1) | instid1(VALU_DEP_2)
	v_add_f16_e32 v57, v76, v57
	v_fma_f16 v76, v88, 0xb93d, -v223
	v_pack_b32_f16 v53, v53, v57
	s_delay_alu instid0(VALU_DEP_2) | instskip(SKIP_1) | instid1(VALU_DEP_2)
	v_add_f16_e32 v51, v76, v51
	v_fma_f16 v57, v75, 0xb93d, -v187
	v_pack_b32_f16 v49, v49, v51
	v_fma_f16 v51, v74, 0x36a6, -v185
	ds_store_2addr_b32 v94, v53, v49 offset0:150 offset1:201
	v_fma_f16 v49, v74, 0x3abb, -v83
	v_add_f16_e64 v51, v178, v51
	v_fma_f16 v53, v75, 0x36a6, -v102
	v_add_f16_e32 v74, v78, v87
	v_lshrrev_b32_e32 v75, 16, v48
	v_add_f16_e64 v49, v178, v49
	v_add_f16_e32 v51, v57, v51
	v_fma_f16 v57, v81, 0xbbad, -v191
	v_add_f16_e64 v74, v179, v74
	v_mul_f16_e64 v76, v75, v214
	v_add_f16_e32 v49, v53, v49
	v_add_f16_e64 v53, v180, v91
	v_add_f16_e32 v51, v57, v51
	v_fma_f16 v57, v84, 0xb08e, -v195
	v_add_f16_e64 v74, v184, v74
	v_add_f16_e32 v49, v55, v49
	v_add_f16_e64 v53, v190, v53
	v_fma_f16 v55, v84, 0xb93d, -v193
	v_add_f16_e32 v51, v57, v51
	v_fma_f16 v57, v88, 0xbbad, -v197
	v_add_f16_e64 v74, v183, v74
	v_add_f16_e64 v53, v194, v53
	v_add_f16_e32 v49, v55, v49
	v_fma_f16 v55, v88, 0x3abb, -v199
	v_fma_f16 v76, v48, v7, -v76
	v_mul_f16_e64 v78, v77, v213
	v_add_f16_e64 v53, v198, v53
	v_add_f16_e32 v49, v57, v49
	v_add_f16_e32 v51, v55, v51
	v_lshrrev_b32_e32 v55, 16, v46
	v_fma_f16 v78, v54, v8, -v78
	v_lshrrev_b32_e32 v81, 16, v52
	v_pack_b32_f16 v49, v74, v49
	v_pack_b32_f16 v51, v53, v51
	v_mul_f16_e64 v53, v58, v133
	v_mul_f16_e64 v57, v55, v217
	;; [unrolled: 1-line block ×3, first 2 shown]
	v_lshrrev_b32_e32 v84, 16, v45
	ds_store_2addr_b32 v95, v51, v49 offset0:124 offset1:175
	v_lshrrev_b32_e32 v49, 16, v58
	v_fma_f16 v57, v46, v5, -v57
	v_mul_f16_e64 v46, v46, v217
	v_fma_f16 v83, v52, v10, -v83
	v_mul_f16_e64 v85, v84, v235
	v_mul_f16_e64 v51, v49, v133
	v_fmac_f16_e32 v53, v49, v4
	v_lshrrev_b32_e32 v49, 16, v44
	v_fmac_f16_e32 v46, v55, v5
	v_lshrrev_b32_e32 v87, 16, v50
	v_fma_f16 v51, v58, v4, -v51
	v_lshrrev_b32_e32 v58, 16, v56
	v_mul_f16_e64 v55, v49, v181
	v_fma_f16 v85, v45, v11, -v85
	v_mul_f16_e64 v88, v87, v210
	v_mul_f16_e64 v48, v48, v214
	;; [unrolled: 1-line block ×3, first 2 shown]
	v_fma_f16 v55, v44, v203, -v55
	v_mul_f16_e64 v44, v44, v181
	v_fma_f16 v88, v50, v202, -v88
	v_fmac_f16_e32 v48, v75, v7
	v_fma_f16 v74, v56, v6, -v74
	v_mul_f16_e64 v56, v56, v216
	v_fmac_f16_e64 v44, v49, v203
	v_add_f16_e32 v49, v43, v51
	v_mul_f16_e64 v54, v54, v213
	v_mul_f16_e64 v52, v52, v219
	v_fmac_f16_e32 v56, v58, v6
	v_add_f16_e32 v58, v51, v55
	v_add_f16_e32 v49, v49, v57
	v_sub_f16_e32 v51, v51, v55
	v_fmac_f16_e32 v54, v77, v8
	v_mul_f16_e64 v45, v45, v235
	v_fmac_f16_e32 v52, v81, v10
	v_add_f16_e32 v49, v49, v74
	v_mul_f16_e64 v50, v50, v210
	v_sub_f16_e32 v77, v53, v44
	v_fmac_f16_e32 v45, v84, v11
	s_delay_alu instid0(VALU_DEP_4) | instskip(NEXT) | instid1(VALU_DEP_4)
	v_add_f16_e32 v49, v49, v76
	v_fmac_f16_e64 v50, v87, v202
	s_delay_alu instid0(VALU_DEP_2) | instskip(NEXT) | instid1(VALU_DEP_2)
	v_add_f16_e32 v49, v49, v78
	v_sub_f16_e32 v79, v46, v50
	s_delay_alu instid0(VALU_DEP_2) | instskip(NEXT) | instid1(VALU_DEP_2)
	v_add_f16_e32 v49, v49, v80
	v_mul_f16_e32 v84, 0xbb47, v79
	v_mul_f16_e64 v179, 0x3482, v79
	s_delay_alu instid0(VALU_DEP_3) | instskip(NEXT) | instid1(VALU_DEP_1)
	v_add_f16_e32 v49, v49, v83
	v_add_f16_e32 v49, v49, v85
	s_delay_alu instid0(VALU_DEP_1) | instskip(NEXT) | instid1(VALU_DEP_1)
	v_add_f16_e32 v49, v49, v88
	v_add_f16_e32 v49, v49, v55
	v_lshrrev_b32_e32 v55, 16, v43
	s_delay_alu instid0(VALU_DEP_1) | instskip(SKIP_1) | instid1(VALU_DEP_2)
	v_add_f16_e32 v75, v55, v53
	v_add_f16_e32 v53, v53, v44
	;; [unrolled: 1-line block ×4, first 2 shown]
	s_delay_alu instid0(VALU_DEP_2) | instskip(NEXT) | instid1(VALU_DEP_1)
	v_add_f16_e32 v75, v75, v56
	v_add_f16_e32 v75, v75, v48
	s_delay_alu instid0(VALU_DEP_1) | instskip(NEXT) | instid1(VALU_DEP_1)
	v_add_f16_e32 v75, v75, v54
	v_add_f16_e32 v75, v75, v47
	s_delay_alu instid0(VALU_DEP_1) | instskip(NEXT) | instid1(VALU_DEP_1)
	v_add_f16_e32 v75, v75, v52
	v_add_f16_e32 v75, v75, v45
	s_delay_alu instid0(VALU_DEP_1) | instskip(SKIP_1) | instid1(VALU_DEP_2)
	v_add_f16_e32 v75, v75, v50
	v_mul_f16_e32 v50, 0xb853, v77
	v_add_f16_e32 v44, v75, v44
	v_sub_f16_e32 v75, v57, v88
	v_add_f16_e32 v57, v57, v88
	s_delay_alu instid0(VALU_DEP_4)
	v_fma_f16 v81, v58, 0x3abb, -v50
	v_fmac_f16_e32 v50, 0x3abb, v58
	v_pack_b32_f16 v44, v49, v44
	v_mul_f16_e32 v89, 0xbb47, v75
	v_fma_f16 v87, v57, 0x36a6, -v84
	v_add_f16_e32 v81, v43, v81
	v_mul_f16_e32 v103, 0xba0c, v75
	v_fma_f16 v180, v57, 0xbbad, -v179
	v_fmamk_f16 v90, v46, 0x36a6, v89
	v_mul_f16_e64 v184, 0x3482, v75
	v_add_f16_e32 v81, v87, v81
	v_mul_f16_e32 v87, 0xb853, v51
	v_fma_f16 v177, 0xb93d, v46, v103
	v_fmac_f16_e64 v179, 0xbbad, v57
	v_fma_f16 v185, 0xbbad, v46, v184
	v_fmac_f16_e32 v84, 0x36a6, v57
	v_fmamk_f16 v88, v53, 0x3abb, v87
	s_delay_alu instid0(VALU_DEP_1) | instskip(NEXT) | instid1(VALU_DEP_1)
	v_add_f16_e32 v88, v55, v88
	v_add_f16_e32 v88, v90, v88
	;; [unrolled: 1-line block ×3, first 2 shown]
	v_sub_f16_e32 v74, v74, v85
	v_sub_f16_e32 v85, v56, v45
	v_add_f16_e32 v45, v56, v45
	s_delay_alu instid0(VALU_DEP_2) | instskip(NEXT) | instid1(VALU_DEP_1)
	v_mul_f16_e32 v56, 0xbbeb, v85
	v_fma_f16 v91, v90, 0xb08e, -v56
	v_fmac_f16_e32 v56, 0xb08e, v90
	s_delay_alu instid0(VALU_DEP_2) | instskip(SKIP_1) | instid1(VALU_DEP_1)
	v_add_f16_e32 v81, v91, v81
	v_mul_f16_e32 v91, 0xbbeb, v74
	v_fmamk_f16 v98, v45, 0xb08e, v91
	s_delay_alu instid0(VALU_DEP_1) | instskip(SKIP_4) | instid1(VALU_DEP_2)
	v_add_f16_e32 v88, v98, v88
	v_add_f16_e32 v98, v76, v83
	v_sub_f16_e32 v76, v76, v83
	v_sub_f16_e32 v83, v48, v52
	v_add_f16_e32 v48, v48, v52
	v_mul_f16_e32 v52, 0xba0c, v83
	s_delay_alu instid0(VALU_DEP_1) | instskip(SKIP_1) | instid1(VALU_DEP_2)
	v_fma_f16 v99, v98, 0xb93d, -v52
	v_fmac_f16_e32 v52, 0xb93d, v98
	v_add_f16_e32 v81, v99, v81
	v_mul_f16_e32 v99, 0xba0c, v76
	s_delay_alu instid0(VALU_DEP_1) | instskip(NEXT) | instid1(VALU_DEP_1)
	v_fmamk_f16 v100, v48, 0xb93d, v99
	v_add_f16_e32 v88, v100, v88
	v_sub_f16_e32 v100, v78, v80
	v_add_f16_e32 v78, v78, v80
	v_sub_f16_e32 v80, v54, v47
	v_add_f16_e32 v47, v54, v47
	s_delay_alu instid0(VALU_DEP_2) | instskip(NEXT) | instid1(VALU_DEP_1)
	v_mul_f16_e32 v54, 0xb482, v80
	v_fma_f16 v101, v78, 0xbbad, -v54
	v_fmac_f16_e32 v54, 0xbbad, v78
	s_delay_alu instid0(VALU_DEP_2) | instskip(SKIP_1) | instid1(VALU_DEP_1)
	v_add_f16_e32 v81, v101, v81
	v_mul_f16_e32 v101, 0xb482, v100
	v_fmamk_f16 v102, v47, 0xbbad, v101
	s_delay_alu instid0(VALU_DEP_1) | instskip(NEXT) | instid1(VALU_DEP_1)
	v_add_f16_e32 v88, v102, v88
	v_pack_b32_f16 v49, v81, v88
	v_mul_f16_e32 v81, 0xba0c, v79
	ds_store_2addr_b32 v73, v44, v49 offset0:98 offset1:149
	v_mul_f16_e32 v44, 0xbb47, v77
	v_fma_f16 v88, v57, 0xb93d, -v81
	v_fmac_f16_e32 v81, 0xb93d, v57
	s_delay_alu instid0(VALU_DEP_3) | instskip(SKIP_1) | instid1(VALU_DEP_2)
	v_fma_f16 v49, v58, 0x36a6, -v44
	v_fmac_f16_e32 v44, 0x36a6, v58
	v_add_f16_e32 v49, v43, v49
	s_delay_alu instid0(VALU_DEP_2) | instskip(NEXT) | instid1(VALU_DEP_2)
	v_add_f16_e32 v44, v43, v44
	v_add_f16_e32 v49, v88, v49
	v_mul_f16_e32 v88, 0xbb47, v51
	s_delay_alu instid0(VALU_DEP_3) | instskip(NEXT) | instid1(VALU_DEP_2)
	v_add_f16_e32 v44, v81, v44
	v_fmamk_f16 v102, v53, 0x36a6, v88
	s_delay_alu instid0(VALU_DEP_1) | instskip(NEXT) | instid1(VALU_DEP_1)
	v_add_f16_e32 v102, v55, v102
	v_add_f16_e64 v102, v177, v102
	v_mul_f16_e64 v177, 0xbbeb, v77
	s_delay_alu instid0(VALU_DEP_1) | instskip(SKIP_1) | instid1(VALU_DEP_2)
	v_fma_f16 v178, v58, 0xb08e, -v177
	v_fmac_f16_e64 v177, 0xb08e, v58
	v_add_f16_e64 v178, v43, v178
	s_delay_alu instid0(VALU_DEP_1) | instskip(SKIP_1) | instid1(VALU_DEP_1)
	v_add_f16_e64 v178, v180, v178
	v_mul_f16_e64 v180, 0xbbeb, v51
	v_fma_f16 v183, 0xb08e, v53, v180
	s_delay_alu instid0(VALU_DEP_1) | instskip(NEXT) | instid1(VALU_DEP_1)
	v_add_f16_e64 v183, v55, v183
	v_add_f16_e64 v183, v185, v183
	v_mul_f16_e64 v185, 0x3482, v85
	s_delay_alu instid0(VALU_DEP_1) | instskip(SKIP_1) | instid1(VALU_DEP_2)
	v_fma_f16 v186, v90, 0xbbad, -v185
	v_fmac_f16_e64 v185, 0xbbad, v90
	v_add_f16_e64 v49, v186, v49
	v_mul_f16_e64 v186, 0x3482, v74
	s_delay_alu instid0(VALU_DEP_3) | instskip(NEXT) | instid1(VALU_DEP_2)
	v_add_f16_e64 v44, v185, v44
	v_fma_f16 v187, 0xbbad, v45, v186
	s_delay_alu instid0(VALU_DEP_1) | instskip(SKIP_1) | instid1(VALU_DEP_1)
	v_add_f16_e64 v102, v187, v102
	v_mul_f16_e64 v187, 0x3b47, v85
	v_fma_f16 v188, v90, 0x36a6, -v187
	v_fmac_f16_e64 v187, 0x36a6, v90
	s_delay_alu instid0(VALU_DEP_2) | instskip(SKIP_1) | instid1(VALU_DEP_1)
	v_add_f16_e64 v178, v188, v178
	v_mul_f16_e64 v188, 0x3b47, v74
	v_fma_f16 v189, 0x36a6, v45, v188
	s_delay_alu instid0(VALU_DEP_1) | instskip(SKIP_1) | instid1(VALU_DEP_1)
	v_add_f16_e64 v183, v189, v183
	v_mul_f16_e64 v189, 0x3beb, v83
	v_fma_f16 v190, v98, 0xb08e, -v189
	v_fmac_f16_e64 v189, 0xb08e, v98
	s_delay_alu instid0(VALU_DEP_2) | instskip(SKIP_1) | instid1(VALU_DEP_3)
	v_add_f16_e64 v49, v190, v49
	v_mul_f16_e64 v190, 0x3beb, v76
	v_add_f16_e64 v44, v189, v44
	s_delay_alu instid0(VALU_DEP_2) | instskip(NEXT) | instid1(VALU_DEP_1)
	v_fma_f16 v191, 0xb08e, v48, v190
	v_add_f16_e64 v102, v191, v102
	v_mul_f16_e64 v191, 0xb853, v83
	s_delay_alu instid0(VALU_DEP_1) | instskip(SKIP_1) | instid1(VALU_DEP_2)
	v_fma_f16 v192, v98, 0x3abb, -v191
	v_fmac_f16_e64 v191, 0x3abb, v98
	v_add_f16_e64 v178, v192, v178
	v_mul_f16_e64 v192, 0xb853, v76
	s_delay_alu instid0(VALU_DEP_1) | instskip(NEXT) | instid1(VALU_DEP_1)
	v_fma_f16 v193, 0x3abb, v48, v192
	v_add_f16_e64 v183, v193, v183
	v_mul_f16_e64 v193, 0x3853, v80
	s_delay_alu instid0(VALU_DEP_1) | instskip(SKIP_1) | instid1(VALU_DEP_2)
	v_fma_f16 v194, v78, 0x3abb, -v193
	v_fmac_f16_e64 v193, 0x3abb, v78
	v_add_f16_e64 v49, v194, v49
	v_mul_f16_e64 v194, 0x3853, v100
	s_delay_alu instid0(VALU_DEP_3) | instskip(NEXT) | instid1(VALU_DEP_2)
	v_add_f16_e64 v44, v193, v44
	v_fma_f16 v195, 0x3abb, v47, v194
	s_delay_alu instid0(VALU_DEP_1) | instskip(SKIP_1) | instid1(VALU_DEP_2)
	v_add_f16_e64 v102, v195, v102
	v_mul_f16_e64 v195, 0xba0c, v80
	v_pack_b32_f16 v49, v49, v102
	s_delay_alu instid0(VALU_DEP_2) | instskip(SKIP_1) | instid1(VALU_DEP_2)
	v_fma_f16 v196, v78, 0xb93d, -v195
	v_fmac_f16_e64 v195, 0xb93d, v78
	v_add_f16_e64 v178, v196, v178
	v_mul_f16_e64 v196, 0xba0c, v100
	s_delay_alu instid0(VALU_DEP_1) | instskip(NEXT) | instid1(VALU_DEP_1)
	v_fma_f16 v197, 0xb93d, v47, v196
	v_add_f16_e64 v183, v197, v183
	v_mul_f16_e64 v197, 0x3beb, v75
	v_mul_f16_e32 v75, 0x3853, v75
	s_delay_alu instid0(VALU_DEP_3) | instskip(NEXT) | instid1(VALU_DEP_3)
	v_pack_b32_f16 v102, v178, v183
	v_fma_f16 v198, 0xb08e, v46, v197
	s_delay_alu instid0(VALU_DEP_3)
	v_fma_f16 v220, 0x3abb, v46, v75
	v_fma_f16 v75, v46, 0x3abb, -v75
	ds_store_2addr_b32 v73, v49, v102 offset0:200 offset1:251
	v_mul_f16_e32 v49, 0xba0c, v77
	v_mul_f16_e32 v102, 0x3beb, v79
	;; [unrolled: 1-line block ×4, first 2 shown]
	s_delay_alu instid0(VALU_DEP_4) | instskip(NEXT) | instid1(VALU_DEP_4)
	v_fma_f16 v73, v58, 0xb93d, -v49
	v_fma_f16 v178, v57, 0xb08e, -v102
	v_fmac_f16_e32 v49, 0xb93d, v58
	s_delay_alu instid0(VALU_DEP_4) | instskip(SKIP_4) | instid1(VALU_DEP_3)
	v_fma_f16 v199, v57, 0x3abb, -v79
	v_fmac_f16_e32 v102, 0xb08e, v57
	v_add_f16_e32 v73, v43, v73
	v_fmac_f16_e32 v79, 0x3abb, v57
	v_add_f16_e32 v49, v43, v49
	v_add_f16_e64 v73, v178, v73
	v_mul_f16_e64 v178, 0xba0c, v51
	v_mul_f16_e32 v51, 0xb482, v51
	s_delay_alu instid0(VALU_DEP_4) | instskip(SKIP_1) | instid1(VALU_DEP_4)
	v_add_f16_e32 v49, v102, v49
	v_fma_f16 v102, v46, 0xb08e, -v197
	v_fma_f16 v183, 0xb93d, v53, v178
	s_delay_alu instid0(VALU_DEP_1) | instskip(NEXT) | instid1(VALU_DEP_1)
	v_add_f16_e64 v183, v55, v183
	v_add_f16_e64 v183, v198, v183
	v_fma_f16 v198, v58, 0xbbad, -v77
	v_fmac_f16_e32 v77, 0xbbad, v58
	s_delay_alu instid0(VALU_DEP_2) | instskip(NEXT) | instid1(VALU_DEP_2)
	v_add_f16_e64 v198, v43, v198
	v_add_f16_e32 v77, v43, v77
	s_delay_alu instid0(VALU_DEP_2) | instskip(SKIP_2) | instid1(VALU_DEP_4)
	v_add_f16_e64 v198, v199, v198
	v_fma_f16 v199, 0xbbad, v53, v51
	v_fma_f16 v51, v53, 0xbbad, -v51
	v_add_f16_e32 v77, v79, v77
	s_delay_alu instid0(VALU_DEP_3) | instskip(NEXT) | instid1(VALU_DEP_3)
	v_add_f16_e64 v199, v55, v199
	v_add_f16_e32 v51, v55, v51
	s_delay_alu instid0(VALU_DEP_2) | instskip(SKIP_2) | instid1(VALU_DEP_4)
	v_add_f16_e64 v199, v220, v199
	v_mul_f16_e64 v220, 0xb853, v85
	v_mul_f16_e32 v85, 0xba0c, v85
	v_add_f16_e32 v51, v75, v51
	s_delay_alu instid0(VALU_DEP_3) | instskip(SKIP_1) | instid1(VALU_DEP_2)
	v_fma_f16 v221, v90, 0x3abb, -v220
	v_fmac_f16_e64 v220, 0x3abb, v90
	v_add_f16_e64 v73, v221, v73
	v_mul_f16_e64 v221, 0xb853, v74
	v_mul_f16_e32 v74, 0xba0c, v74
	s_delay_alu instid0(VALU_DEP_4) | instskip(NEXT) | instid1(VALU_DEP_3)
	v_add_f16_e64 v49, v220, v49
	v_fma_f16 v222, 0x3abb, v45, v221
	v_fma_f16 v75, v45, 0x3abb, -v221
	s_delay_alu instid0(VALU_DEP_2) | instskip(SKIP_2) | instid1(VALU_DEP_2)
	v_add_f16_e64 v183, v222, v183
	v_fma_f16 v222, v90, 0xb93d, -v85
	v_fmac_f16_e32 v85, 0xb93d, v90
	v_add_f16_e64 v198, v222, v198
	v_fma_f16 v222, 0xb93d, v45, v74
	v_fma_f16 v74, v45, 0xb93d, -v74
	s_delay_alu instid0(VALU_DEP_2) | instskip(SKIP_2) | instid1(VALU_DEP_4)
	v_add_f16_e64 v199, v222, v199
	v_mul_f16_e64 v222, 0xb482, v83
	v_mul_f16_e32 v83, 0x3b47, v83
	v_add_f16_e32 v51, v74, v51
	s_delay_alu instid0(VALU_DEP_3) | instskip(SKIP_1) | instid1(VALU_DEP_2)
	v_fma_f16 v223, v98, 0xbbad, -v222
	v_fmac_f16_e64 v222, 0xbbad, v98
	v_add_f16_e64 v73, v223, v73
	v_mul_f16_e64 v223, 0xb482, v76
	v_mul_f16_e32 v76, 0x3b47, v76
	s_delay_alu instid0(VALU_DEP_4) | instskip(NEXT) | instid1(VALU_DEP_3)
	v_add_f16_e64 v49, v222, v49
	v_fma_f16 v224, 0xbbad, v48, v223
	v_fma_f16 v74, v48, 0xbbad, -v223
	s_delay_alu instid0(VALU_DEP_2) | instskip(SKIP_2) | instid1(VALU_DEP_2)
	v_add_f16_e64 v183, v224, v183
	v_fma_f16 v224, v98, 0x36a6, -v83
	v_fmac_f16_e32 v83, 0x36a6, v98
	v_add_f16_e64 v198, v224, v198
	v_fma_f16 v224, 0x36a6, v48, v76
	s_delay_alu instid0(VALU_DEP_1) | instskip(SKIP_2) | instid1(VALU_DEP_2)
	v_add_f16_e64 v199, v224, v199
	v_mul_f16_e64 v224, 0x3b47, v80
	v_mul_f16_e32 v80, 0xbbeb, v80
	v_fma_f16 v225, v78, 0x36a6, -v224
	v_fmac_f16_e64 v224, 0x36a6, v78
	s_delay_alu instid0(VALU_DEP_2) | instskip(SKIP_2) | instid1(VALU_DEP_4)
	v_add_f16_e64 v73, v225, v73
	v_mul_f16_e64 v225, 0x3b47, v100
	v_mul_f16_e32 v100, 0xbbeb, v100
	v_add_f16_e64 v49, v224, v49
	s_delay_alu instid0(VALU_DEP_3) | instskip(NEXT) | instid1(VALU_DEP_1)
	v_fma_f16 v226, 0x36a6, v47, v225
	v_add_f16_e64 v183, v226, v183
	v_fma_f16 v226, v78, 0xb08e, -v80
	v_fmac_f16_e32 v80, 0xb08e, v78
	s_delay_alu instid0(VALU_DEP_3) | instskip(NEXT) | instid1(VALU_DEP_3)
	v_pack_b32_f16 v73, v73, v183
	v_add_f16_e64 v198, v226, v198
	v_fma_f16 v226, 0xb08e, v47, v100
	s_delay_alu instid0(VALU_DEP_1) | instskip(NEXT) | instid1(VALU_DEP_1)
	v_add_f16_e64 v199, v226, v199
	v_pack_b32_f16 v183, v198, v199
	v_add_nc_u32_e32 v198, 0x1400, v160
	ds_store_2addr_b32 v198, v73, v183 offset0:46 offset1:97
	v_fma_f16 v73, v53, 0xb93d, -v178
	s_delay_alu instid0(VALU_DEP_1) | instskip(NEXT) | instid1(VALU_DEP_1)
	v_add_f16_e32 v73, v55, v73
	v_add_f16_e32 v73, v102, v73
	s_delay_alu instid0(VALU_DEP_1) | instskip(SKIP_1) | instid1(VALU_DEP_2)
	v_add_f16_e32 v73, v75, v73
	v_add_f16_e32 v75, v85, v77
	;; [unrolled: 1-line block ×3, first 2 shown]
	s_delay_alu instid0(VALU_DEP_2) | instskip(SKIP_1) | instid1(VALU_DEP_2)
	v_add_f16_e32 v74, v83, v75
	v_fma_f16 v75, v48, 0x36a6, -v76
	v_add_f16_e32 v74, v80, v74
	s_delay_alu instid0(VALU_DEP_2) | instskip(SKIP_1) | instid1(VALU_DEP_1)
	v_add_f16_e32 v51, v75, v51
	v_fma_f16 v75, v47, 0xb08e, -v100
	v_add_f16_e32 v51, v75, v51
	v_fma_f16 v75, v47, 0x36a6, -v225
	s_delay_alu instid0(VALU_DEP_2) | instskip(NEXT) | instid1(VALU_DEP_2)
	v_pack_b32_f16 v51, v74, v51
	v_add_f16_e32 v73, v75, v73
	v_fma_f16 v74, v46, 0xbbad, -v184
	s_delay_alu instid0(VALU_DEP_2)
	v_pack_b32_f16 v49, v49, v73
	v_fma_f16 v73, v53, 0xb08e, -v180
	ds_store_2addr_b32 v198, v51, v49 offset0:148 offset1:199
	v_fma_f16 v49, v53, 0x36a6, -v88
	v_fma_f16 v51, v46, 0xb93d, -v103
	v_add_f16_e32 v73, v55, v73
	v_fma_f16 v46, v46, 0x36a6, -v89
	s_delay_alu instid0(VALU_DEP_4) | instskip(NEXT) | instid1(VALU_DEP_3)
	v_add_f16_e32 v49, v55, v49
	v_add_f16_e32 v73, v74, v73
	v_fma_f16 v74, v45, 0xbbad, -v186
	s_delay_alu instid0(VALU_DEP_3) | instskip(SKIP_2) | instid1(VALU_DEP_3)
	v_add_f16_e32 v49, v51, v49
	v_add_f16_e64 v51, v43, v177
	v_add_f16_e32 v43, v43, v50
	v_add_f16_e32 v49, v74, v49
	v_fma_f16 v74, v45, 0x36a6, -v188
	s_delay_alu instid0(VALU_DEP_4) | instskip(NEXT) | instid1(VALU_DEP_4)
	v_add_f16_e64 v51, v179, v51
	v_add_f16_e32 v43, v84, v43
	v_fma_f16 v45, v45, 0xb08e, -v91
	s_delay_alu instid0(VALU_DEP_4) | instskip(SKIP_3) | instid1(VALU_DEP_3)
	v_add_f16_e32 v73, v74, v73
	v_fma_f16 v74, v48, 0xb08e, -v190
	v_add_f16_e64 v51, v187, v51
	v_add_f16_e32 v43, v56, v43
	v_add_f16_e32 v49, v74, v49
	v_fma_f16 v74, v48, 0x3abb, -v192
	s_delay_alu instid0(VALU_DEP_4) | instskip(NEXT) | instid1(VALU_DEP_4)
	v_add_f16_e64 v51, v191, v51
	v_add_f16_e32 v43, v52, v43
	s_delay_alu instid0(VALU_DEP_3) | instskip(SKIP_1) | instid1(VALU_DEP_4)
	v_add_f16_e32 v73, v74, v73
	v_fma_f16 v74, v47, 0xb93d, -v196
	v_add_f16_e64 v51, v195, v51
	s_delay_alu instid0(VALU_DEP_4) | instskip(NEXT) | instid1(VALU_DEP_3)
	v_add_f16_e32 v43, v54, v43
	v_add_f16_e32 v73, v74, v73
	v_fma_f16 v74, v47, 0x3abb, -v194
	s_delay_alu instid0(VALU_DEP_2) | instskip(NEXT) | instid1(VALU_DEP_2)
	v_pack_b32_f16 v51, v51, v73
	v_add_f16_e32 v49, v74, v49
	s_delay_alu instid0(VALU_DEP_1) | instskip(SKIP_4) | instid1(VALU_DEP_2)
	v_pack_b32_f16 v44, v44, v49
	v_add_nc_u32_e32 v49, 0x1600, v160
	ds_store_2addr_b32 v49, v51, v44 offset0:122 offset1:173
	v_fma_f16 v44, v53, 0x3abb, -v87
	v_lshlrev_b32_e32 v49, 3, v69
	v_add_f16_e32 v44, v55, v44
	s_delay_alu instid0(VALU_DEP_1) | instskip(NEXT) | instid1(VALU_DEP_1)
	v_add_f16_e32 v44, v46, v44
	v_add_f16_e32 v44, v45, v44
	v_fma_f16 v45, v48, 0xb93d, -v99
	s_delay_alu instid0(VALU_DEP_1) | instskip(SKIP_2) | instid1(VALU_DEP_2)
	v_add_f16_e32 v44, v45, v44
	v_fma_f16 v45, v47, 0xbbad, -v101
	v_lshlrev_b32_e32 v47, 3, v70
	v_add_f16_e32 v44, v45, v44
	v_lshlrev_b32_e32 v45, 3, v59
	s_delay_alu instid0(VALU_DEP_2)
	v_pack_b32_f16 v43, v43, v44
	ds_store_b32 v160, v43 offset:6528
	v_lshlrev_b32_e32 v43, 3, v105
	s_waitcnt lgkmcnt(0)
	s_barrier
	buffer_gl0_inv
	s_clause 0x3
	global_load_b64 v[43:44], v43, s[0:1] offset:2176
	global_load_b64 v[45:46], v45, s[0:1] offset:2176
	;; [unrolled: 1-line block ×4, first 2 shown]
	ds_load_2addr_b32 v[51:52], v86 offset0:98 offset1:149
	ds_load_2addr_b32 v[69:70], v92 offset0:126 offset1:177
	s_waitcnt lgkmcnt(1)
	v_lshrrev_b32_e32 v53, 16, v51
	s_waitcnt lgkmcnt(0)
	v_lshrrev_b32_e32 v233, 16, v69
	s_waitcnt vmcnt(3)
	v_lshrrev_b32_e32 v20, 16, v44
	v_lshrrev_b32_e32 v178, 16, v43
	s_waitcnt vmcnt(2)
	v_lshrrev_b32_e32 v41, 16, v46
	s_waitcnt vmcnt(1)
	;; [unrolled: 2-line block ×3, first 2 shown]
	v_lshrrev_b32_e32 v179, 16, v48
	v_mul_f16_e32 v54, v53, v20
	v_mul_f16_e32 v57, v51, v20
	v_mul_f16_e64 v59, v70, v178
	v_mul_f16_e32 v58, v52, v41
	scratch_store_b32 off, v20, off offset:72 ; 4-byte Folded Spill
	v_fma_f16 v55, v51, v44, -v54
	v_lshrrev_b32_e32 v54, 16, v52
	v_lshrrev_b32_e32 v51, 16, v70
	v_fmac_f16_e32 v57, v53, v44
	v_lshrrev_b32_e32 v20, 16, v45
	v_lshrrev_b32_e32 v212, 16, v47
	v_mul_f16_e32 v56, v54, v41
	v_fmac_f16_e32 v59, v51, v43
	v_mul_f16_e64 v51, v51, v178
	v_fmac_f16_e32 v58, v54, v46
	scratch_store_b32 off, v20, off offset:76 ; 4-byte Folded Spill
	v_fma_f16 v56, v52, v46, -v56
	v_fma_f16 v70, v70, v43, -v51
	ds_load_2addr_b32 v[51:52], v207 offset1:51
	s_waitcnt lgkmcnt(0)
	v_lshrrev_b32_e32 v73, 16, v51
	v_add_f16_e32 v53, v51, v70
	v_lshrrev_b32_e32 v77, 16, v52
	s_delay_alu instid0(VALU_DEP_3) | instskip(NEXT) | instid1(VALU_DEP_3)
	v_add_f16_e32 v54, v73, v59
	v_add_f16_e32 v53, v53, v55
	s_delay_alu instid0(VALU_DEP_2) | instskip(NEXT) | instid1(VALU_DEP_1)
	v_add_f16_e32 v54, v54, v57
	v_pack_b32_f16 v74, v53, v54
	ds_load_2addr_b32 v[53:54], v82 offset0:100 offset1:151
	s_waitcnt lgkmcnt(0)
	v_lshrrev_b32_e32 v75, 16, v53
	v_mul_f16_e32 v76, v53, v20
	s_delay_alu instid0(VALU_DEP_1)
	v_fmac_f16_e32 v76, v75, v45
	v_mul_f16_e32 v75, v75, v20
	v_lshrrev_b32_e32 v20, 16, v184
	scratch_store_b32 off, v41, off offset:84 ; 4-byte Folded Spill
	v_add_f16_e32 v78, v77, v76
	v_fma_f16 v53, v53, v45, -v75
	scratch_store_b32 off, v20, off offset:64 ; 4-byte Folded Spill
	v_add_f16_e32 v78, v78, v58
	v_add_f16_e32 v75, v52, v53
	s_delay_alu instid0(VALU_DEP_1) | instskip(NEXT) | instid1(VALU_DEP_1)
	v_add_f16_e32 v75, v75, v56
	v_pack_b32_f16 v75, v75, v78
	ds_store_2addr_b32 v207, v74, v75 offset1:51
	v_add_f16_e32 v74, v53, v56
	v_sub_f16_e32 v53, v53, v56
	s_delay_alu instid0(VALU_DEP_2) | instskip(SKIP_2) | instid1(VALU_DEP_2)
	v_fmac_f16_e32 v52, -0.5, v74
	v_add_f16_e32 v74, v76, v58
	v_sub_f16_e32 v58, v76, v58
	v_fmac_f16_e32 v77, -0.5, v74
	s_delay_alu instid0(VALU_DEP_2) | instskip(SKIP_1) | instid1(VALU_DEP_3)
	v_fmamk_f16 v56, v58, 0x3aee, v52
	v_fmac_f16_e32 v52, 0xbaee, v58
	v_fmamk_f16 v58, v53, 0xbaee, v77
	v_fmac_f16_e32 v77, 0x3aee, v53
	v_add_f16_e32 v53, v70, v55
	s_delay_alu instid0(VALU_DEP_3) | instskip(NEXT) | instid1(VALU_DEP_3)
	v_pack_b32_f16 v56, v56, v58
	v_pack_b32_f16 v52, v52, v77
	s_delay_alu instid0(VALU_DEP_3) | instskip(SKIP_2) | instid1(VALU_DEP_2)
	v_fma_f16 v51, -0.5, v53, v51
	v_add_f16_e32 v53, v59, v57
	v_sub_f16_e32 v57, v59, v57
	v_fmac_f16_e32 v73, -0.5, v53
	v_sub_f16_e32 v53, v70, v55
	s_delay_alu instid0(VALU_DEP_3) | instskip(SKIP_2) | instid1(VALU_DEP_4)
	v_fmamk_f16 v89, v57, 0x3aee, v51
	v_fmac_f16_e32 v51, 0xbaee, v57
	v_mul_f16_e64 v57, v54, v185
	v_fmamk_f16 v90, v53, 0xbaee, v73
	v_fmac_f16_e32 v73, 0x3aee, v53
	s_delay_alu instid0(VALU_DEP_2) | instskip(NEXT) | instid1(VALU_DEP_2)
	v_pack_b32_f16 v89, v89, v90
	v_pack_b32_f16 v51, v51, v73
	ds_store_2addr_b32 v86, v51, v52 offset0:98 offset1:149
	v_lshrrev_b32_e32 v51, 16, v54
	s_delay_alu instid0(VALU_DEP_1) | instskip(SKIP_1) | instid1(VALU_DEP_2)
	v_mul_f16_e64 v52, v51, v185
	v_fmac_f16_e64 v57, v51, v183
	v_fma_f16 v55, v54, v183, -v52
	ds_load_2addr_b32 v[51:52], v86 offset0:200 offset1:251
	ds_load_2addr_b32 v[53:54], v207 offset0:102 offset1:153
	s_waitcnt lgkmcnt(1)
	v_lshrrev_b32_e32 v59, 16, v51
	v_mul_f16_e32 v70, v51, v20
	s_waitcnt lgkmcnt(0)
	v_lshrrev_b32_e32 v73, 16, v53
	s_delay_alu instid0(VALU_DEP_3) | instskip(NEXT) | instid1(VALU_DEP_3)
	v_mul_f16_e32 v58, v59, v20
	v_fmac_f16_e64 v70, v59, v184
	s_delay_alu instid0(VALU_DEP_3) | instskip(NEXT) | instid1(VALU_DEP_3)
	v_add_f16_e32 v75, v73, v57
	v_fma_f16 v51, v51, v184, -v58
	s_delay_alu instid0(VALU_DEP_3) | instskip(SKIP_1) | instid1(VALU_DEP_3)
	v_add_f16_e32 v74, v57, v70
	v_sub_f16_e32 v57, v57, v70
	v_add_f16_e32 v58, v55, v51
	s_delay_alu instid0(VALU_DEP_3) | instskip(SKIP_1) | instid1(VALU_DEP_3)
	v_fmac_f16_e32 v73, -0.5, v74
	v_sub_f16_e32 v76, v55, v51
	v_fma_f16 v74, -0.5, v58, v53
	v_add_f16_e32 v53, v53, v55
	s_delay_alu instid0(VALU_DEP_3) | instskip(SKIP_1) | instid1(VALU_DEP_4)
	v_fmamk_f16 v59, v76, 0xbaee, v73
	v_fmac_f16_e32 v73, 0x3aee, v76
	v_fmamk_f16 v58, v57, 0x3aee, v74
	s_delay_alu instid0(VALU_DEP_4) | instskip(SKIP_4) | instid1(VALU_DEP_4)
	v_add_f16_e32 v51, v53, v51
	v_add_f16_e32 v53, v75, v70
	v_fmac_f16_e32 v74, 0xbaee, v57
	v_lshlrev_b32_e32 v57, 3, v63
	v_pack_b32_f16 v58, v58, v59
	v_pack_b32_f16 v51, v51, v53
	ds_store_2addr_b32 v82, v56, v58 offset0:100 offset1:151
	v_lshrrev_b32_e32 v56, 16, v52
	s_delay_alu instid0(VALU_DEP_1) | instskip(NEXT) | instid1(VALU_DEP_1)
	v_mul_f16_e64 v58, v56, v179
	v_fma_f16 v77, v52, v48, -v58
	ds_load_2addr_b32 v[58:59], v82 offset0:202 offset1:253
	v_mul_f16_e64 v52, v52, v179
	s_delay_alu instid0(VALU_DEP_1) | instskip(SKIP_4) | instid1(VALU_DEP_2)
	v_fmac_f16_e32 v52, v56, v48
	s_waitcnt lgkmcnt(0)
	v_lshrrev_b32_e32 v53, 16, v58
	v_mul_f16_e64 v55, v58, v212
	v_lshrrev_b32_e32 v63, 16, v59
	v_fmac_f16_e32 v55, v53, v47
	v_mul_f16_e64 v53, v53, v212
	s_delay_alu instid0(VALU_DEP_1) | instskip(SKIP_1) | instid1(VALU_DEP_2)
	v_fma_f16 v53, v58, v47, -v53
	v_lshrrev_b32_e32 v58, 16, v54
	v_add_f16_e32 v56, v54, v53
	s_delay_alu instid0(VALU_DEP_2) | instskip(NEXT) | instid1(VALU_DEP_2)
	v_add_f16_e32 v70, v58, v55
	v_add_f16_e32 v56, v56, v77
	s_delay_alu instid0(VALU_DEP_2) | instskip(NEXT) | instid1(VALU_DEP_1)
	v_add_f16_e32 v70, v70, v52
	v_pack_b32_f16 v56, v56, v70
	ds_store_2addr_b32 v207, v51, v56 offset0:102 offset1:153
	v_add_f16_e32 v51, v53, v77
	s_delay_alu instid0(VALU_DEP_1) | instskip(SKIP_3) | instid1(VALU_DEP_3)
	v_fmac_f16_e32 v54, -0.5, v51
	v_add_f16_e32 v51, v55, v52
	v_sub_f16_e32 v52, v55, v52
	v_lshlrev_b32_e32 v55, 3, v64
	v_fmac_f16_e32 v58, -0.5, v51
	v_sub_f16_e32 v51, v53, v77
	s_delay_alu instid0(VALU_DEP_4)
	v_fmamk_f16 v70, v52, 0x3aee, v54
	v_fmac_f16_e32 v54, 0xbaee, v52
	v_pack_b32_f16 v52, v74, v73
	v_lshlrev_b32_e32 v53, 3, v71
	v_fmamk_f16 v75, v51, 0xbaee, v58
	v_fmac_f16_e32 v58, 0x3aee, v51
	s_delay_alu instid0(VALU_DEP_2) | instskip(NEXT) | instid1(VALU_DEP_2)
	v_pack_b32_f16 v70, v70, v75
	v_pack_b32_f16 v51, v54, v58
	ds_store_2addr_b32 v86, v52, v51 offset0:200 offset1:251
	v_lshlrev_b32_e32 v51, 3, v72
	s_clause 0x3
	global_load_b64 v[51:52], v51, s[0:1] offset:2176
	global_load_b64 v[187:188], v53, s[0:1] offset:2176
	global_load_b64 v[55:56], v55, s[0:1] offset:2176
	global_load_b64 v[57:58], v57, s[0:1] offset:2176
	ds_load_2addr_b32 v[71:72], v207 offset0:204 offset1:255
	s_waitcnt lgkmcnt(0)
	v_lshrrev_b32_e32 v77, 16, v71
	v_lshrrev_b32_e32 v220, 16, v72
	s_waitcnt vmcnt(3)
	v_lshrrev_b32_e32 v20, 16, v51
	v_lshrrev_b32_e32 v177, 16, v52
	s_waitcnt vmcnt(2)
	;; [unrolled: 3-line block ×3, first 2 shown]
	v_lshrrev_b32_e32 v104, 16, v55
	v_mul_f16_e32 v64, v63, v20
	v_lshrrev_b32_e32 v190, 16, v56
	s_waitcnt vmcnt(0)
	v_lshrrev_b32_e32 v191, 16, v58
	v_lshrrev_b32_e32 v192, 16, v57
	scratch_store_b32 off, v20, off offset:96 ; 4-byte Folded Spill
	v_fma_f16 v73, v59, v51, -v64
	v_mul_f16_e32 v59, v59, v20
	s_delay_alu instid0(VALU_DEP_1)
	v_fmac_f16_e32 v59, v63, v51
	ds_load_2addr_b32 v[63:64], v93 offset0:46 offset1:97
	v_add_f16_e32 v79, v77, v59
	s_waitcnt lgkmcnt(0)
	v_lshrrev_b32_e32 v74, 16, v63
	v_mul_f16_e64 v76, v63, v177
	s_delay_alu instid0(VALU_DEP_1) | instskip(SKIP_1) | instid1(VALU_DEP_2)
	v_fmac_f16_e32 v76, v74, v52
	v_mul_f16_e64 v74, v74, v177
	v_add_f16_e32 v78, v59, v76
	s_delay_alu instid0(VALU_DEP_2) | instskip(SKIP_1) | instid1(VALU_DEP_3)
	v_fma_f16 v63, v63, v52, -v74
	v_sub_f16_e32 v59, v59, v76
	v_fmac_f16_e32 v77, -0.5, v78
	s_delay_alu instid0(VALU_DEP_3) | instskip(SKIP_1) | instid1(VALU_DEP_2)
	v_add_f16_e32 v74, v73, v63
	v_sub_f16_e32 v75, v73, v63
	v_fma_f16 v74, -0.5, v74, v71
	s_delay_alu instid0(VALU_DEP_2) | instskip(SKIP_1) | instid1(VALU_DEP_3)
	v_fmamk_f16 v80, v75, 0xbaee, v77
	v_fmac_f16_e32 v77, 0x3aee, v75
	v_fmamk_f16 v78, v59, 0x3aee, v74
	v_fmac_f16_e32 v74, 0xbaee, v59
	s_delay_alu instid0(VALU_DEP_2) | instskip(SKIP_3) | instid1(VALU_DEP_1)
	v_pack_b32_f16 v78, v78, v80
	v_mul_f16_e64 v80, v64, v198
	ds_store_2addr_b32 v82, v70, v78 offset0:202 offset1:253
	v_lshrrev_b32_e32 v70, 16, v64
	v_mul_f16_e64 v78, v70, v198
	v_fmac_f16_e64 v80, v70, v188
	s_delay_alu instid0(VALU_DEP_2) | instskip(SKIP_1) | instid1(VALU_DEP_1)
	v_fma_f16 v78, v64, v188, -v78
	v_add_f16_e32 v64, v71, v73
	v_add_f16_e32 v63, v64, v63
	v_add_f16_e32 v64, v79, v76
	s_delay_alu instid0(VALU_DEP_1) | instskip(SKIP_4) | instid1(VALU_DEP_1)
	v_pack_b32_f16 v70, v63, v64
	ds_load_2addr_b32 v[63:64], v94 offset0:48 offset1:99
	s_waitcnt lgkmcnt(0)
	v_lshrrev_b32_e32 v71, 16, v63
	v_mul_f16_e64 v73, v63, v189
	v_fmac_f16_e64 v73, v71, v187
	v_mul_f16_e64 v71, v71, v189
	s_delay_alu instid0(VALU_DEP_2) | instskip(NEXT) | instid1(VALU_DEP_2)
	v_add_f16_e64 v76, v220, v73
	v_fma_f16 v63, v63, v187, -v71
	s_delay_alu instid0(VALU_DEP_2) | instskip(NEXT) | instid1(VALU_DEP_2)
	v_add_f16_e32 v76, v76, v80
	v_add_f16_e32 v71, v72, v63
	s_delay_alu instid0(VALU_DEP_1) | instskip(NEXT) | instid1(VALU_DEP_1)
	v_add_f16_e32 v71, v71, v78
	v_pack_b32_f16 v71, v71, v76
	ds_store_2addr_b32 v207, v70, v71 offset0:204 offset1:255
	v_add_f16_e32 v70, v63, v78
	v_sub_f16_e32 v71, v73, v80
	v_sub_f16_e32 v63, v63, v78
	s_delay_alu instid0(VALU_DEP_3) | instskip(SKIP_1) | instid1(VALU_DEP_2)
	v_fmac_f16_e32 v72, -0.5, v70
	v_add_f16_e32 v70, v73, v80
	v_fmamk_f16 v59, v71, 0x3aee, v72
	s_delay_alu instid0(VALU_DEP_2) | instskip(SKIP_1) | instid1(VALU_DEP_2)
	v_fmac_f16_e64 v220, -0.5, v70
	v_fmac_f16_e32 v72, 0xbaee, v71
	v_fma_f16 v70, 0xbaee, v63, v220
	v_fmac_f16_e64 v220, 0x3aee, v63
	v_pack_b32_f16 v63, v74, v77
	ds_load_2addr_b32 v[76:77], v96 offset0:50 offset1:101
	v_pack_b32_f16 v59, v59, v70
	v_pack_b32_f16 v71, v72, v220
	ds_store_2addr_b32 v93, v63, v71 offset0:46 offset1:97
	v_lshrrev_b32_e32 v63, 16, v64
	s_delay_alu instid0(VALU_DEP_1) | instskip(NEXT) | instid1(VALU_DEP_1)
	v_mul_f16_e32 v71, v63, v104
	v_fma_f16 v75, v64, v55, -v71
	v_mul_f16_e32 v71, v64, v104
	s_waitcnt lgkmcnt(1)
	v_lshrrev_b32_e32 v221, 16, v76
	v_lshrrev_b32_e32 v223, 16, v77
	s_delay_alu instid0(VALU_DEP_3)
	v_fmac_f16_e32 v71, v63, v55
	ds_load_2addr_b32 v[63:64], v93 offset0:148 offset1:199
	v_add_f16_e64 v79, v221, v71
	s_waitcnt lgkmcnt(0)
	v_lshrrev_b32_e32 v73, 16, v63
	v_mul_f16_e64 v74, v63, v190
	s_delay_alu instid0(VALU_DEP_2) | instskip(NEXT) | instid1(VALU_DEP_2)
	v_mul_f16_e64 v70, v73, v190
	v_fmac_f16_e32 v74, v73, v56
	s_delay_alu instid0(VALU_DEP_2) | instskip(NEXT) | instid1(VALU_DEP_2)
	v_fma_f16 v63, v63, v56, -v70
	v_add_f16_e32 v78, v71, v74
	v_sub_f16_e32 v80, v71, v74
	v_add_f16_e64 v224, v79, v74
	s_delay_alu instid0(VALU_DEP_4) | instskip(NEXT) | instid1(VALU_DEP_4)
	v_add_f16_e32 v70, v75, v63
	v_fmac_f16_e64 v221, -0.5, v78
	v_sub_f16_e32 v81, v75, v63
	s_delay_alu instid0(VALU_DEP_3) | instskip(NEXT) | instid1(VALU_DEP_2)
	v_fma_f16 v71, -0.5, v70, v76
	v_fma_f16 v222, 0xbaee, v81, v221
	v_fmac_f16_e64 v221, 0x3aee, v81
	s_delay_alu instid0(VALU_DEP_3) | instskip(SKIP_1) | instid1(VALU_DEP_2)
	v_fmamk_f16 v70, v80, 0x3aee, v71
	v_fmac_f16_e32 v71, 0xbaee, v80
	v_pack_b32_f16 v73, v70, v222
	ds_store_2addr_b32 v94, v59, v73 offset0:48 offset1:99
	v_lshrrev_b32_e32 v59, 16, v64
	s_delay_alu instid0(VALU_DEP_1) | instskip(NEXT) | instid1(VALU_DEP_1)
	v_mul_f16_e64 v73, v59, v191
	v_fma_f16 v83, v64, v58, -v73
	ds_load_2addr_b32 v[73:74], v94 offset0:150 offset1:201
	v_mul_f16_e64 v64, v64, v191
	s_delay_alu instid0(VALU_DEP_1) | instskip(SKIP_3) | instid1(VALU_DEP_1)
	v_fmac_f16_e32 v64, v59, v58
	s_waitcnt lgkmcnt(0)
	v_lshrrev_b32_e32 v59, 16, v73
	v_mul_f16_e64 v79, v73, v192
	v_fmac_f16_e32 v79, v59, v57
	v_mul_f16_e64 v59, v59, v192
	s_delay_alu instid0(VALU_DEP_1) | instskip(SKIP_1) | instid1(VALU_DEP_4)
	v_fma_f16 v59, v73, v57, -v59
	v_add_f16_e32 v73, v76, v75
	v_add_f16_e64 v75, v223, v79
	s_delay_alu instid0(VALU_DEP_2) | instskip(NEXT) | instid1(VALU_DEP_4)
	v_add_f16_e32 v73, v73, v63
	v_add_f16_e32 v63, v77, v59
	s_delay_alu instid0(VALU_DEP_3) | instskip(NEXT) | instid1(VALU_DEP_2)
	v_add_f16_e32 v41, v75, v64
	v_add_f16_e32 v78, v63, v83
	s_delay_alu instid0(VALU_DEP_4) | instskip(NEXT) | instid1(VALU_DEP_2)
	v_pack_b32_f16 v63, v73, v224
	v_pack_b32_f16 v75, v78, v41
	ds_store_2addr_b32 v96, v63, v75 offset0:50 offset1:101
	v_add_f16_e32 v63, v59, v83
	v_sub_f16_e32 v59, v59, v83
	v_lshrrev_b32_e32 v75, 16, v74
	s_delay_alu instid0(VALU_DEP_3) | instskip(SKIP_2) | instid1(VALU_DEP_2)
	v_fmac_f16_e32 v77, -0.5, v63
	v_add_f16_e32 v63, v79, v64
	v_sub_f16_e32 v64, v79, v64
	v_fmac_f16_e64 v223, -0.5, v63
	s_delay_alu instid0(VALU_DEP_2) | instskip(SKIP_1) | instid1(VALU_DEP_3)
	v_fmamk_f16 v79, v64, 0x3aee, v77
	v_fmac_f16_e32 v77, 0xbaee, v64
	v_fma_f16 v42, 0xbaee, v59, v223
	v_fmac_f16_e64 v223, 0x3aee, v59
	v_pack_b32_f16 v59, v71, v221
	s_delay_alu instid0(VALU_DEP_2)
	v_pack_b32_f16 v63, v77, v223
	ds_store_2addr_b32 v93, v59, v63 offset0:148 offset1:199
	v_lshlrev_b32_e32 v59, 3, v62
	v_lshlrev_b32_e32 v63, 3, v60
	s_clause 0x2
	global_load_b64 v[49:50], v59, s[0:1] offset:2176
	global_load_b64 v[59:60], v61, s[0:1] offset:2176
	;; [unrolled: 1-line block ×3, first 2 shown]
	ds_load_2addr_b32 v[80:81], v96 offset0:152 offset1:203
	s_waitcnt lgkmcnt(0)
	v_lshrrev_b32_e32 v227, 16, v80
	v_lshrrev_b32_e32 v229, 16, v81
	s_waitcnt vmcnt(2)
	v_lshrrev_b32_e32 v186, 16, v49
	v_lshrrev_b32_e32 v180, 16, v50
	s_waitcnt vmcnt(1)
	;; [unrolled: 3-line block ×3, first 2 shown]
	v_lshrrev_b32_e32 v193, 16, v61
	v_mul_f16_e64 v76, v75, v186
	v_lshrrev_b32_e32 v158, 16, v62
	s_delay_alu instid0(VALU_DEP_2) | instskip(SKIP_1) | instid1(VALU_DEP_1)
	v_fma_f16 v83, v74, v49, -v76
	v_mul_f16_e64 v74, v74, v186
	v_fmac_f16_e32 v74, v75, v49
	ds_load_2addr_b32 v[75:76], v97 offset0:122 offset1:173
	v_add_f16_e64 v88, v227, v74
	s_waitcnt lgkmcnt(0)
	v_lshrrev_b32_e32 v84, 16, v75
	v_mul_f16_e64 v85, v75, v180
	s_delay_alu instid0(VALU_DEP_1) | instskip(SKIP_1) | instid1(VALU_DEP_2)
	v_fmac_f16_e32 v85, v84, v50
	v_mul_f16_e64 v84, v84, v180
	v_add_f16_e32 v87, v74, v85
	s_delay_alu instid0(VALU_DEP_2) | instskip(SKIP_2) | instid1(VALU_DEP_4)
	v_fma_f16 v84, v75, v50, -v84
	v_sub_f16_e32 v91, v74, v85
	v_add_f16_e32 v54, v88, v85
	v_fmac_f16_e64 v227, -0.5, v87
	s_delay_alu instid0(VALU_DEP_4) | instskip(SKIP_2) | instid1(VALU_DEP_3)
	v_add_f16_e32 v74, v83, v84
	v_sub_f16_e32 v98, v83, v84
	v_pack_b32_f16 v87, v79, v42
	v_fma_f16 v75, -0.5, v74, v80
	s_delay_alu instid0(VALU_DEP_3) | instskip(SKIP_2) | instid1(VALU_DEP_4)
	v_fma_f16 v53, 0xbaee, v98, v227
	v_add_f16_e32 v80, v80, v83
	v_fmac_f16_e64 v227, 0x3aee, v98
	v_fmamk_f16 v74, v91, 0x3aee, v75
	v_fmac_f16_e32 v75, 0xbaee, v91
	s_delay_alu instid0(VALU_DEP_2) | instskip(SKIP_2) | instid1(VALU_DEP_1)
	v_pack_b32_f16 v99, v74, v53
	ds_store_2addr_b32 v94, v87, v99 offset0:150 offset1:201
	v_lshrrev_b32_e32 v87, 16, v76
	v_mul_f16_e64 v99, v87, v215
	s_delay_alu instid0(VALU_DEP_1) | instskip(SKIP_1) | instid1(VALU_DEP_1)
	v_fma_f16 v99, v76, v60, -v99
	v_mul_f16_e64 v76, v76, v215
	v_fmac_f16_e32 v76, v87, v60
	ds_load_2addr_b32 v[87:88], v95 offset0:124 offset1:175
	s_waitcnt lgkmcnt(0)
	v_lshrrev_b32_e32 v85, 16, v87
	v_mul_f16_e64 v100, v87, v197
	s_delay_alu instid0(VALU_DEP_1) | instskip(SKIP_1) | instid1(VALU_DEP_2)
	v_fmac_f16_e32 v100, v85, v59
	v_mul_f16_e64 v85, v85, v197
	v_add_f16_e64 v83, v229, v100
	s_delay_alu instid0(VALU_DEP_2) | instskip(NEXT) | instid1(VALU_DEP_2)
	v_fma_f16 v85, v87, v59, -v85
	v_add_f16_e32 v63, v83, v76
	v_add_f16_e32 v83, v80, v84
	s_delay_alu instid0(VALU_DEP_3) | instskip(NEXT) | instid1(VALU_DEP_1)
	v_add_f16_e32 v80, v81, v85
	v_add_f16_e32 v84, v80, v99
	s_delay_alu instid0(VALU_DEP_3) | instskip(NEXT) | instid1(VALU_DEP_2)
	v_pack_b32_f16 v80, v83, v54
	v_pack_b32_f16 v87, v84, v63
	ds_store_2addr_b32 v96, v80, v87 offset0:152 offset1:203
	v_add_f16_e32 v80, v85, v99
	s_delay_alu instid0(VALU_DEP_1) | instskip(SKIP_2) | instid1(VALU_DEP_2)
	v_fmac_f16_e32 v81, -0.5, v80
	v_add_f16_e32 v80, v100, v76
	v_sub_f16_e32 v76, v100, v76
	v_fmac_f16_e64 v229, -0.5, v80
	v_sub_f16_e32 v80, v85, v99
	s_delay_alu instid0(VALU_DEP_3) | instskip(SKIP_2) | instid1(VALU_DEP_4)
	v_fmamk_f16 v85, v76, 0x3aee, v81
	v_fmac_f16_e32 v81, 0xbaee, v76
	v_pack_b32_f16 v76, v75, v227
	v_fma_f16 v64, 0xbaee, v80, v229
	v_fmac_f16_e64 v229, 0x3aee, v80
	s_delay_alu instid0(VALU_DEP_1) | instskip(SKIP_2) | instid1(VALU_DEP_1)
	v_pack_b32_f16 v80, v81, v229
	ds_store_2addr_b32 v97, v76, v80 offset0:122 offset1:173
	v_lshrrev_b32_e32 v76, 16, v88
	v_mul_f16_e64 v80, v76, v193
	s_delay_alu instid0(VALU_DEP_1) | instskip(SKIP_1) | instid1(VALU_DEP_1)
	v_fma_f16 v91, v88, v61, -v80
	v_mul_f16_e64 v88, v88, v193
	v_fmac_f16_e32 v88, v76, v61
	ds_load_b32 v76, v207 offset:6528
	s_waitcnt lgkmcnt(0)
	v_lshrrev_b32_e32 v87, 16, v76
	s_delay_alu instid0(VALU_DEP_1) | instskip(NEXT) | instid1(VALU_DEP_1)
	v_mul_f16_e64 v98, v87, v158
	v_fma_f16 v98, v76, v62, -v98
	v_mul_f16_e64 v76, v76, v158
	s_delay_alu instid0(VALU_DEP_1) | instskip(SKIP_1) | instid1(VALU_DEP_1)
	v_fmac_f16_e32 v76, v87, v62
	v_add_f16_e64 v87, v233, v88
	v_add_f16_e32 v67, v87, v76
	v_add_f16_e32 v87, v69, v91
	s_delay_alu instid0(VALU_DEP_1) | instskip(NEXT) | instid1(VALU_DEP_1)
	v_add_f16_e32 v87, v87, v98
	v_pack_b32_f16 v90, v87, v67
	ds_store_2addr_b32 v92, v90, v89 offset0:126 offset1:177
	v_add_f16_e32 v89, v88, v76
	v_sub_f16_e32 v90, v91, v98
	v_sub_f16_e32 v88, v88, v76
	s_delay_alu instid0(VALU_DEP_3) | instskip(SKIP_1) | instid1(VALU_DEP_2)
	v_fmac_f16_e64 v233, -0.5, v89
	v_add_f16_e32 v89, v91, v98
	v_fma_f16 v68, 0xbaee, v90, v233
	s_delay_alu instid0(VALU_DEP_2) | instskip(SKIP_3) | instid1(VALU_DEP_4)
	v_fmac_f16_e32 v69, -0.5, v89
	v_fmac_f16_e64 v233, 0x3aee, v90
	v_pack_b32_f16 v89, v85, v64
	v_lshlrev_b32_e32 v90, 2, v105
	v_fmamk_f16 v76, v88, 0x3aee, v69
	v_fmac_f16_e32 v69, 0xbaee, v88
	s_delay_alu instid0(VALU_DEP_2) | instskip(NEXT) | instid1(VALU_DEP_2)
	v_pack_b32_f16 v91, v76, v68
	v_pack_b32_f16 v88, v69, v233
	ds_store_2addr_b32 v95, v89, v91 offset0:124 offset1:175
	ds_store_b32 v207, v88 offset:6528
	s_waitcnt lgkmcnt(0)
	s_waitcnt_vscnt null, 0x0
	s_barrier
	buffer_gl0_inv
	s_clause 0x7
	global_load_b32 v91, v90, s[2:3]
	global_load_b32 v98, v90, s[2:3] offset:396
	global_load_b32 v99, v90, s[2:3] offset:792
	;; [unrolled: 1-line block ×7, first 2 shown]
	ds_load_2addr_b32 v[88:89], v207 offset1:99
	s_waitcnt lgkmcnt(0)
	v_lshrrev_b32_e32 v238, 16, v88
	s_waitcnt vmcnt(7)
	v_lshrrev_b32_e32 v237, 16, v91
	s_delay_alu instid0(VALU_DEP_1) | instskip(NEXT) | instid1(VALU_DEP_3)
	v_mul_f16_e64 v239, v88, v237
	v_mul_f16_e64 v237, v238, v237
	s_delay_alu instid0(VALU_DEP_2) | instskip(NEXT) | instid1(VALU_DEP_2)
	v_fmac_f16_e64 v239, v238, v91
	v_fma_f16 v88, v88, v91, -v237
	v_lshrrev_b32_e32 v91, 16, v89
	s_waitcnt vmcnt(6)
	v_lshrrev_b32_e32 v237, 16, v98
	s_delay_alu instid0(VALU_DEP_3) | instskip(NEXT) | instid1(VALU_DEP_2)
	v_pack_b32_f16 v88, v88, v239
	v_mul_f16_e64 v238, v91, v237
	v_mul_f16_e64 v237, v89, v237
	s_delay_alu instid0(VALU_DEP_2) | instskip(NEXT) | instid1(VALU_DEP_2)
	v_fma_f16 v89, v89, v98, -v238
	v_fmac_f16_e64 v237, v91, v98
	v_add_nc_u32_e32 v98, 0x200, v207
	s_waitcnt vmcnt(5)
	v_lshrrev_b32_e32 v91, 16, v99
	s_delay_alu instid0(VALU_DEP_3)
	v_pack_b32_f16 v89, v89, v237
	ds_store_2addr_b32 v207, v88, v89 offset1:99
	ds_load_2addr_b32 v[88:89], v98 offset0:70 offset1:169
	s_waitcnt lgkmcnt(0)
	v_lshrrev_b32_e32 v237, 16, v88
	v_mul_f16_e64 v238, v88, v91
	s_delay_alu instid0(VALU_DEP_2) | instskip(NEXT) | instid1(VALU_DEP_2)
	v_mul_f16_e64 v91, v237, v91
	v_fmac_f16_e64 v238, v237, v99
	s_delay_alu instid0(VALU_DEP_2) | instskip(SKIP_3) | instid1(VALU_DEP_3)
	v_fma_f16 v88, v88, v99, -v91
	v_lshrrev_b32_e32 v91, 16, v89
	s_waitcnt vmcnt(4)
	v_lshrrev_b32_e32 v99, 16, v100
	v_pack_b32_f16 v88, v88, v238
	s_delay_alu instid0(VALU_DEP_2) | instskip(SKIP_1) | instid1(VALU_DEP_2)
	v_mul_f16_e64 v237, v91, v99
	v_mul_f16_e32 v99, v89, v99
	v_fma_f16 v89, v89, v100, -v237
	s_delay_alu instid0(VALU_DEP_2) | instskip(SKIP_2) | instid1(VALU_DEP_2)
	v_fmac_f16_e32 v99, v91, v100
	s_waitcnt vmcnt(3)
	v_lshrrev_b32_e32 v91, 16, v101
	v_pack_b32_f16 v89, v89, v99
	ds_store_2addr_b32 v98, v88, v89 offset0:70 offset1:169
	ds_load_2addr_b32 v[88:89], v96 offset0:140 offset1:239
	s_waitcnt lgkmcnt(0)
	v_lshrrev_b32_e32 v99, 16, v88
	v_mul_f16_e32 v100, v88, v91
	s_delay_alu instid0(VALU_DEP_2) | instskip(NEXT) | instid1(VALU_DEP_2)
	v_mul_f16_e32 v91, v99, v91
	v_fmac_f16_e32 v100, v99, v101
	s_waitcnt vmcnt(2)
	v_lshrrev_b32_e32 v99, 16, v102
	s_delay_alu instid0(VALU_DEP_3) | instskip(SKIP_1) | instid1(VALU_DEP_2)
	v_fma_f16 v91, v88, v101, -v91
	v_lshrrev_b32_e32 v88, 16, v89
	v_pack_b32_f16 v91, v91, v100
	s_delay_alu instid0(VALU_DEP_2) | instskip(SKIP_1) | instid1(VALU_DEP_2)
	v_mul_f16_e32 v101, v88, v99
	v_mul_f16_e32 v99, v89, v99
	v_fma_f16 v101, v89, v102, -v101
	s_delay_alu instid0(VALU_DEP_2)
	v_fmac_f16_e32 v99, v88, v102
	ds_load_2addr_b32 v[88:89], v82 offset0:82 offset1:181
	s_waitcnt vmcnt(1)
	v_lshrrev_b32_e32 v102, 16, v103
	v_pack_b32_f16 v99, v101, v99
	ds_store_2addr_b32 v96, v91, v99 offset0:140 offset1:239
	s_waitcnt lgkmcnt(1)
	v_lshrrev_b32_e32 v237, 16, v88
	v_mul_f16_e64 v238, v88, v102
	s_delay_alu instid0(VALU_DEP_2) | instskip(NEXT) | instid1(VALU_DEP_2)
	v_mul_f16_e64 v102, v237, v102
	v_fmac_f16_e64 v238, v237, v103
	s_delay_alu instid0(VALU_DEP_2) | instskip(SKIP_3) | instid1(VALU_DEP_3)
	v_fma_f16 v88, v88, v103, -v102
	v_lshrrev_b32_e32 v102, 16, v89
	s_waitcnt vmcnt(0)
	v_lshrrev_b32_e32 v103, 16, v236
	v_pack_b32_f16 v88, v88, v238
	s_delay_alu instid0(VALU_DEP_2) | instskip(SKIP_1) | instid1(VALU_DEP_2)
	v_mul_f16_e64 v237, v102, v103
	v_mul_f16_e32 v103, v89, v103
	v_fma_f16 v89, v89, v236, -v237
	s_delay_alu instid0(VALU_DEP_2) | instskip(NEXT) | instid1(VALU_DEP_1)
	v_fmac_f16_e64 v103, v102, v236
	v_pack_b32_f16 v89, v89, v103
	ds_store_2addr_b32 v82, v88, v89 offset0:82 offset1:181
	s_clause 0x2
	global_load_b32 v101, v90, s[2:3] offset:3168
	global_load_b32 v102, v90, s[2:3] offset:3564
	;; [unrolled: 1-line block ×3, first 2 shown]
	v_add_co_u32 v90, s0, s2, v90
	s_delay_alu instid0(VALU_DEP_1) | instskip(NEXT) | instid1(VALU_DEP_2)
	v_add_co_ci_u32_e64 v91, null, s3, 0, s0
	v_add_co_u32 v88, s0, 0x1000, v90
	s_delay_alu instid0(VALU_DEP_1)
	v_add_co_ci_u32_e64 v89, s0, 0, v91, s0
	s_clause 0x4
	global_load_b32 v236, v[88:89], off offset:260
	global_load_b32 v237, v[88:89], off offset:656
	;; [unrolled: 1-line block ×5, first 2 shown]
	ds_load_2addr_b32 v[99:100], v94 offset0:24 offset1:123
	s_waitcnt lgkmcnt(0)
	v_lshrrev_b32_e32 v242, 16, v99
	s_waitcnt vmcnt(7)
	v_lshrrev_b32_e32 v241, 16, v101
	s_delay_alu instid0(VALU_DEP_1) | instskip(NEXT) | instid1(VALU_DEP_3)
	v_mul_f16_e64 v243, v99, v241
	v_mul_f16_e64 v241, v242, v241
	s_delay_alu instid0(VALU_DEP_2) | instskip(NEXT) | instid1(VALU_DEP_2)
	v_fmac_f16_e64 v243, v242, v101
	v_fma_f16 v101, v99, v101, -v241
	v_lshrrev_b32_e32 v99, 16, v100
	s_waitcnt vmcnt(6)
	v_lshrrev_b32_e32 v241, 16, v102
	s_waitcnt vmcnt(3)
	v_lshrrev_b32_e32 v246, 16, v237
	v_pack_b32_f16 v101, v101, v243
	s_delay_alu instid0(VALU_DEP_3) | instskip(SKIP_1) | instid1(VALU_DEP_2)
	v_mul_f16_e64 v242, v99, v241
	v_mul_f16_e64 v241, v100, v241
	v_fma_f16 v242, v100, v102, -v242
	s_delay_alu instid0(VALU_DEP_2) | instskip(SKIP_4) | instid1(VALU_DEP_2)
	v_fmac_f16_e64 v241, v99, v102
	ds_load_2addr_b32 v[99:100], v95 offset0:94 offset1:193
	v_lshrrev_b32_e32 v102, 16, v103
	s_waitcnt lgkmcnt(0)
	v_lshrrev_b32_e32 v244, 16, v99
	v_mul_f16_e64 v245, v99, v102
	s_delay_alu instid0(VALU_DEP_2) | instskip(NEXT) | instid1(VALU_DEP_2)
	v_mul_f16_e64 v102, v244, v102
	v_fmac_f16_e64 v245, v244, v103
	s_delay_alu instid0(VALU_DEP_2) | instskip(SKIP_2) | instid1(VALU_DEP_1)
	v_fma_f16 v102, v99, v103, -v102
	v_lshrrev_b32_e32 v99, 16, v100
	v_lshrrev_b32_e32 v103, 16, v236
	v_mul_f16_e64 v244, v99, v103
	v_mul_f16_e32 v103, v100, v103
	s_delay_alu instid0(VALU_DEP_2) | instskip(NEXT) | instid1(VALU_DEP_2)
	v_fma_f16 v244, v100, v236, -v244
	v_fmac_f16_e64 v103, v99, v236
	v_add_nc_u32_e32 v236, 0x1200, v207
	ds_load_2addr_b32 v[99:100], v236 offset0:36 offset1:135
	s_waitcnt lgkmcnt(0)
	v_lshrrev_b32_e32 v247, 16, v99
	v_mul_f16_e64 v248, v99, v246
	s_delay_alu instid0(VALU_DEP_2) | instskip(NEXT) | instid1(VALU_DEP_2)
	v_mul_f16_e64 v246, v247, v246
	v_fmac_f16_e64 v248, v247, v237
	s_delay_alu instid0(VALU_DEP_2) | instskip(SKIP_3) | instid1(VALU_DEP_1)
	v_fma_f16 v237, v99, v237, -v246
	v_lshrrev_b32_e32 v99, 16, v100
	s_waitcnt vmcnt(2)
	v_lshrrev_b32_e32 v246, 16, v238
	v_mul_f16_e64 v247, v99, v246
	v_mul_f16_e64 v246, v100, v246
	s_delay_alu instid0(VALU_DEP_2) | instskip(NEXT) | instid1(VALU_DEP_2)
	v_fma_f16 v247, v100, v238, -v247
	v_fmac_f16_e64 v246, v99, v238
	ds_load_2addr_b32 v[99:100], v93 offset0:106 offset1:205
	s_waitcnt vmcnt(1)
	v_lshrrev_b32_e32 v238, 16, v239
	s_waitcnt lgkmcnt(0)
	v_lshrrev_b32_e32 v249, 16, v99
	s_delay_alu instid0(VALU_DEP_2) | instskip(NEXT) | instid1(VALU_DEP_2)
	v_mul_f16_e64 v250, v99, v238
	v_mul_f16_e64 v238, v249, v238
	s_delay_alu instid0(VALU_DEP_2) | instskip(NEXT) | instid1(VALU_DEP_2)
	v_fmac_f16_e64 v250, v249, v239
	v_fma_f16 v99, v99, v239, -v238
	v_lshrrev_b32_e32 v238, 16, v100
	s_waitcnt vmcnt(0)
	v_lshrrev_b32_e32 v239, 16, v240
	s_delay_alu instid0(VALU_DEP_3) | instskip(NEXT) | instid1(VALU_DEP_2)
	v_pack_b32_f16 v99, v99, v250
	v_mul_f16_e64 v249, v238, v239
	v_mul_f16_e64 v239, v100, v239
	s_delay_alu instid0(VALU_DEP_2) | instskip(NEXT) | instid1(VALU_DEP_2)
	v_fma_f16 v100, v100, v240, -v249
	v_fmac_f16_e64 v239, v238, v240
	global_load_b32 v238, v[88:89], off offset:2240
	ds_load_b32 v240, v207 offset:6336
	v_pack_b32_f16 v100, v100, v239
	ds_store_2addr_b32 v93, v99, v100 offset0:106 offset1:205
	s_waitcnt lgkmcnt(1)
	v_lshrrev_b32_e32 v249, 16, v240
	s_waitcnt vmcnt(0)
	v_lshrrev_b32_e32 v251, 16, v238
	s_delay_alu instid0(VALU_DEP_1) | instskip(SKIP_1) | instid1(VALU_DEP_2)
	v_mul_f16_e64 v252, v249, v251
	v_mul_f16_e64 v251, v240, v251
	v_fma_f16 v240, v240, v238, -v252
	s_delay_alu instid0(VALU_DEP_2) | instskip(SKIP_1) | instid1(VALU_DEP_2)
	v_fmac_f16_e64 v251, v249, v238
	v_pack_b32_f16 v238, v242, v241
	v_pack_b32_f16 v99, v240, v251
	ds_store_2addr_b32 v94, v101, v238 offset0:24 offset1:123
	v_pack_b32_f16 v101, v102, v245
	v_pack_b32_f16 v102, v244, v103
	ds_store_b32 v207, v99 offset:6336
	ds_store_2addr_b32 v95, v101, v102 offset0:94 offset1:193
	v_pack_b32_f16 v101, v237, v248
	v_pack_b32_f16 v102, v247, v246
	ds_store_2addr_b32 v236, v101, v102 offset0:36 offset1:135
	s_and_saveexec_b32 s0, vcc_lo
	s_cbranch_execz .LBB0_9
; %bb.8:
	s_clause 0xe
	global_load_b32 v99, v[90:91], off offset:204
	global_load_b32 v100, v[90:91], off offset:600
	;; [unrolled: 1-line block ×15, first 2 shown]
	scratch_load_b32 v20, off, off          ; 4-byte Folded Reload
	s_waitcnt vmcnt(15)
	v_lshrrev_b32_e32 v91, 16, v99
	s_waitcnt vmcnt(14)
	v_lshrrev_b32_e32 v102, 16, v100
	;; [unrolled: 2-line block ×6, first 2 shown]
	s_waitcnt vmcnt(0)
	v_lshl_or_b32 v90, v20, 2, 0x1800
	s_clause 0x1
	global_load_b32 v249, v90, s[2:3]
	global_load_b32 v250, v[88:89], off offset:2444
	ds_load_2addr_b32 v[88:89], v207 offset0:51 offset1:150
	s_waitcnt lgkmcnt(0)
	v_lshrrev_b32_e32 v90, 16, v88
	v_lshrrev_b32_e32 v101, 16, v89
	s_delay_alu instid0(VALU_DEP_2) | instskip(SKIP_1) | instid1(VALU_DEP_3)
	v_mul_f16_e64 v251, v90, v91
	v_mul_f16_e32 v91, v88, v91
	v_mul_f16_e64 v252, v101, v102
	v_mul_f16_e32 v102, v89, v102
	s_delay_alu instid0(VALU_DEP_4) | instskip(NEXT) | instid1(VALU_DEP_4)
	v_fma_f16 v88, v88, v99, -v251
	v_fmac_f16_e32 v91, v90, v99
	s_delay_alu instid0(VALU_DEP_4) | instskip(NEXT) | instid1(VALU_DEP_4)
	v_fma_f16 v89, v89, v100, -v252
	v_fmac_f16_e32 v102, v101, v100
	v_lshrrev_b32_e32 v101, 16, v103
	v_lshrrev_b32_e32 v251, 16, v238
	v_pack_b32_f16 v88, v88, v91
	v_lshrrev_b32_e32 v252, 16, v239
	v_pack_b32_f16 v89, v89, v102
	v_lshrrev_b32_e32 v102, 16, v237
	ds_store_2addr_b32 v207, v88, v89 offset0:51 offset1:150
	ds_load_2addr_b32 v[88:89], v98 offset0:121 offset1:220
	ds_load_2addr_b32 v[90:91], v92 offset0:63 offset1:162
	;; [unrolled: 1-line block ×3, first 2 shown]
	s_waitcnt lgkmcnt(2)
	v_lshrrev_b32_e32 v143, 16, v88
	v_lshrrev_b32_e32 v107, 16, v89
	v_mul_f16_e32 v109, v88, v101
	v_mul_f16_e32 v111, v89, v102
	s_waitcnt lgkmcnt(1)
	v_lshrrev_b32_e32 v114, 16, v90
	v_mul_f16_e64 v118, v143, v101
	v_mul_f16_e32 v119, v107, v102
	v_fmac_f16_e64 v109, v143, v103
	v_lshrrev_b32_e32 v143, 16, v91
	v_fmac_f16_e64 v111, v107, v237
	v_mul_f16_e64 v107, v114, v251
	v_mul_f16_e64 v115, v90, v251
	ds_load_2addr_b32 v[101:102], v94 offset0:75 offset1:174
	v_fma_f16 v103, v88, v103, -v118
	v_fma_f16 v118, v89, v237, -v119
	v_mul_f16_e64 v119, v143, v252
	ds_load_2addr_b32 v[88:89], v86 offset0:17 offset1:116
	v_fma_f16 v107, v90, v238, -v107
	s_waitcnt lgkmcnt(2)
	v_lshrrev_b32_e32 v90, 16, v99
	v_mul_f16_e64 v237, v91, v252
	v_fma_f16 v119, v91, v239, -v119
	v_mul_f16_e64 v251, v99, v253
	v_fmac_f16_e64 v115, v114, v238
	v_mul_f16_e64 v91, v90, v253
	v_lshrrev_b32_e32 v238, 16, v100
	v_fmac_f16_e64 v237, v143, v239
	v_fmac_f16_e64 v251, v90, v240
	v_lshrrev_b32_e32 v114, 16, v244
	v_fma_f16 v240, v99, v240, -v91
	ds_load_2addr_b32 v[90:91], v236 offset0:87 offset1:186
	v_mul_f16_e64 v239, v238, v254
	v_mul_f16_e64 v252, v100, v254
	s_waitcnt lgkmcnt(2)
	v_lshrrev_b32_e32 v99, 16, v101
	v_mul_f16_e64 v253, v101, v255
	v_lshrrev_b32_e32 v143, 16, v245
	v_fma_f16 v239, v100, v241, -v239
	v_lshrrev_b32_e32 v100, 16, v102
	s_waitcnt lgkmcnt(1)
	v_lshrrev_b32_e32 v254, 16, v88
	v_fmac_f16_e64 v252, v238, v241
	v_mul_f16_e64 v238, v102, v105
	v_mul_f16_e64 v241, v99, v255
	v_fmac_f16_e64 v253, v99, v242
	v_mul_f16_e32 v99, v100, v105
	v_mul_f16_e32 v105, v88, v114
	v_mul_f16_e64 v114, v254, v114
	v_fmac_f16_e64 v238, v100, v243
	v_fma_f16 v101, v101, v242, -v241
	v_lshrrev_b32_e32 v241, 16, v89
	v_fma_f16 v102, v102, v243, -v99
	ds_load_2addr_b32 v[99:100], v97 offset0:29 offset1:128
	v_lshrrev_b32_e32 v243, 16, v246
	v_fma_f16 v88, v88, v244, -v114
	s_waitcnt lgkmcnt(1)
	v_lshrrev_b32_e32 v114, 16, v90
	v_fmac_f16_e64 v105, v254, v244
	v_mul_f16_e64 v242, v241, v143
	v_mul_f16_e64 v143, v89, v143
	;; [unrolled: 1-line block ×4, first 2 shown]
	v_pack_b32_f16 v103, v103, v109
	v_fma_f16 v89, v89, v245, -v242
	v_lshrrev_b32_e32 v242, 16, v247
	v_fmac_f16_e64 v143, v241, v245
	v_lshrrev_b32_e32 v241, 16, v91
	v_fma_f16 v90, v90, v246, -v243
	ds_load_b32 v243, v207 offset:6540
	v_lshrrev_b32_e32 v245, 16, v248
	v_fmac_f16_e64 v244, v114, v246
	v_mul_f16_e64 v114, v241, v242
	v_mul_f16_e64 v242, v91, v242
	v_pack_b32_f16 v109, v118, v111
	s_waitcnt lgkmcnt(1)
	v_mul_f16_e64 v246, v99, v245
	v_pack_b32_f16 v107, v107, v115
	v_fma_f16 v91, v91, v247, -v114
	v_lshrrev_b32_e32 v114, 16, v99
	v_fmac_f16_e64 v242, v241, v247
	v_lshrrev_b32_e32 v247, 16, v100
	v_pack_b32_f16 v111, v119, v237
	v_pack_b32_f16 v115, v240, v251
	v_mul_f16_e64 v245, v114, v245
	v_fmac_f16_e64 v246, v114, v248
	v_pack_b32_f16 v118, v239, v252
	v_pack_b32_f16 v101, v101, v253
	;; [unrolled: 1-line block ×3, first 2 shown]
	v_fma_f16 v99, v99, v248, -v245
	s_waitcnt lgkmcnt(0)
	v_lshrrev_b32_e32 v254, 16, v243
	v_pack_b32_f16 v88, v88, v105
	v_pack_b32_f16 v89, v89, v143
	;; [unrolled: 1-line block ×5, first 2 shown]
	s_waitcnt vmcnt(1)
	v_lshrrev_b32_e32 v241, 16, v249
	s_delay_alu instid0(VALU_DEP_1) | instskip(SKIP_1) | instid1(VALU_DEP_2)
	v_mul_f16_e64 v114, v100, v241
	v_mul_f16_e64 v241, v247, v241
	v_fmac_f16_e64 v114, v247, v249
	s_waitcnt vmcnt(0)
	v_lshrrev_b32_e32 v247, 16, v250
	s_delay_alu instid0(VALU_DEP_3) | instskip(NEXT) | instid1(VALU_DEP_2)
	v_fma_f16 v100, v100, v249, -v241
	v_mul_f16_e64 v255, v243, v247
	v_mul_f16_e64 v247, v254, v247
	s_delay_alu instid0(VALU_DEP_3) | instskip(NEXT) | instid1(VALU_DEP_3)
	v_pack_b32_f16 v100, v100, v114
	v_fmac_f16_e64 v255, v254, v250
	s_delay_alu instid0(VALU_DEP_3) | instskip(NEXT) | instid1(VALU_DEP_1)
	v_fma_f16 v241, v243, v250, -v247
	v_pack_b32_f16 v105, v241, v255
	ds_store_2addr_b32 v98, v103, v109 offset0:121 offset1:220
	ds_store_2addr_b32 v92, v107, v111 offset0:63 offset1:162
	;; [unrolled: 1-line block ×7, first 2 shown]
	ds_store_b32 v207, v105 offset:6540
.LBB0_9:
	s_or_b32 exec_lo, exec_lo, s0
	s_waitcnt lgkmcnt(0)
	s_barrier
	buffer_gl0_inv
	ds_load_2addr_b32 v[88:89], v207 offset1:99
	ds_load_2addr_b32 v[102:103], v98 offset0:70 offset1:169
	ds_load_2addr_b32 v[100:101], v96 offset0:140 offset1:239
	;; [unrolled: 1-line block ×7, first 2 shown]
	ds_load_b32 v239, v207 offset:6336
	s_and_saveexec_b32 s0, vcc_lo
	s_cbranch_execz .LBB0_11
; %bb.10:
	v_add_nc_u32_e32 v69, 0x200, v207
	v_add_nc_u32_e32 v74, 0x600, v207
	;; [unrolled: 1-line block ×5, first 2 shown]
	ds_load_2addr_b32 v[70:71], v69 offset0:121 offset1:220
	v_add_nc_u32_e32 v69, 0xc00, v207
	ds_load_2addr_b32 v[78:79], v74 offset0:63 offset1:162
	ds_load_2addr_b32 v[82:83], v75 offset0:133 offset1:232
	;; [unrolled: 1-line block ×4, first 2 shown]
	v_add_nc_u32_e32 v69, 0x1600, v207
	ds_load_2addr_b32 v[84:85], v76 offset0:17 offset1:116
	ds_load_2addr_b32 v[86:87], v77 offset0:87 offset1:186
	;; [unrolled: 1-line block ×3, first 2 shown]
	ds_load_b32 v110, v207 offset:6540
	s_waitcnt lgkmcnt(8)
	v_lshrrev_b32_e32 v222, 16, v70
	v_lshrrev_b32_e32 v221, 16, v71
	s_waitcnt lgkmcnt(7)
	v_lshrrev_b32_e32 v41, 16, v78
	v_lshrrev_b32_e32 v42, 16, v79
	;; [unrolled: 3-line block ×3, first 2 shown]
	v_lshrrev_b32_e32 v223, 16, v82
	v_lshrrev_b32_e32 v54, 16, v83
	s_waitcnt lgkmcnt(4)
	v_lshrrev_b32_e32 v53, 16, v74
	s_waitcnt lgkmcnt(1)
	v_mov_b32_e32 v69, v77
	v_lshrrev_b32_e32 v227, 16, v75
	v_lshrrev_b32_e32 v63, 16, v84
	;; [unrolled: 1-line block ×7, first 2 shown]
	s_waitcnt lgkmcnt(0)
	v_lshrrev_b32_e32 v106, 16, v110
	v_mov_b32_e32 v81, v86
	v_mov_b32_e32 v77, v82
.LBB0_11:
	s_or_b32 exec_lo, exec_lo, s0
	s_waitcnt lgkmcnt(8)
	v_pk_add_f16 v82, v88, v89
	s_waitcnt lgkmcnt(3)
	v_pk_add_f16 v240, v98, v97 neg_lo:[0,1] neg_hi:[0,1]
	v_pk_add_f16 v241, v97, v98
	v_pk_add_f16 v242, v96, v99
	s_waitcnt lgkmcnt(0)
	v_pk_add_f16 v236, v89, v239 neg_lo:[0,1] neg_hi:[0,1]
	v_pk_add_f16 v82, v82, v102
	v_pk_add_f16 v89, v239, v89
	v_pk_add_f16 v238, v101, v94 neg_lo:[0,1] neg_hi:[0,1]
	v_pk_add_f16 v86, v93, v102
	v_pk_mul_f16 v107, 0xb5c8, v236 op_sel_hi:[0,1]
	v_pk_add_f16 v105, v82, v103
	v_pk_add_f16 v82, v102, v93 neg_lo:[0,1] neg_hi:[0,1]
	v_lshrrev_b32_e32 v109, 16, v89
	v_lshrrev_b32_e32 v111, 16, v236
	v_pk_fma_f16 v243, 0x3b76, v89, v107 op_sel:[0,0,1] op_sel_hi:[0,1,0]
	v_pk_add_f16 v105, v105, v100
	v_pk_fma_f16 v244, 0x3b76, v89, v107 op_sel:[0,0,1] op_sel_hi:[0,1,0] neg_lo:[0,0,1] neg_hi:[0,0,1]
	v_mul_f16_e32 v107, 0x39e9, v109
	v_mul_f16_e32 v115, 0x3722, v109
	;; [unrolled: 1-line block ×3, first 2 shown]
	v_pk_add_f16 v105, v105, v101
	v_pk_add_f16 v101, v94, v101
	v_mul_f16_e64 v143, 0xb461, v109
	v_mul_f16_e64 v246, 0xb8d2, v109
	v_mul_f16_e32 v109, 0xbacd, v109
	v_pk_add_f16 v105, v105, v98
	v_pk_add_f16 v98, v99, v96 neg_lo:[0,1] neg_hi:[0,1]
	v_lshrrev_b32_e32 v245, 16, v88
	v_pk_add_f16 v102, v103, v92 neg_lo:[0,1] neg_hi:[0,1]
	v_pk_add_f16 v103, v92, v103
	v_pk_add_f16 v99, v105, v99
	v_pk_mul_f16 v105, 0xb964, v82 op_sel_hi:[0,1]
	v_pk_add_f16 v237, v100, v95 neg_lo:[0,1] neg_hi:[0,1]
	v_pk_add_f16 v100, v95, v100
	v_lshrrev_b32_e32 v114, 16, v82
	v_pk_add_f16 v99, v99, v90
	v_fma_f16 v247, 0x3964, v236, v107
	v_fmac_f16_e64 v107, 0xb964, v236
	v_fma_f16 v248, 0x3bf7, v236, v118
	v_fmac_f16_e64 v118, 0xbbf7, v236
	v_pk_add_f16 v119, v99, v91
	v_pk_fma_f16 v99, 0x39e9, v86, v105 op_sel:[0,0,1] op_sel_hi:[0,1,0]
	v_fma_f16 v249, 0x3a62, v236, v246
	v_fmac_f16_e64 v246, 0xba62, v236
	v_bfi_b32 v250, 0xffff, v243, v244
	v_pk_add_f16 v119, v119, v96
	v_pk_fma_f16 v96, 0x39e9, v86, v105 op_sel:[0,0,1] op_sel_hi:[0,1,0] neg_lo:[0,0,1] neg_hi:[0,0,1]
	v_mul_f16_e32 v105, 0xb964, v111
	v_add_f16_e64 v247, v245, v247
	v_add_f16_e64 v107, v245, v107
	v_pk_add_f16 v97, v119, v97
	v_fma_f16 v119, 0x3b29, v236, v115
	v_fmac_f16_e64 v115, 0xbb29, v236
	v_add_f16_e64 v248, v245, v248
	v_add_f16_e64 v118, v245, v118
	v_pk_add_f16 v94, v97, v94
	v_fma_f16 v97, 0x3bb2, v236, v143
	v_fmac_f16_e64 v143, 0xbbb2, v236
	;; [unrolled: 5-line block ×3, first 2 shown]
	v_add_f16_e64 v97, v245, v97
	v_add_f16_e64 v143, v245, v143
	v_pk_add_f16 v92, v94, v92
	v_add_f16_e64 v94, v245, v249
	v_add_f16_e64 v246, v245, v246
	;; [unrolled: 1-line block ×3, first 2 shown]
	v_pk_add_f16 v249, v88, v250
	v_pk_add_f16 v92, v92, v93
	v_bfi_b32 v93, 0xffff, v99, v96
	v_add_f16_e64 v109, v245, v109
	v_fma_f16 v245, 0x39e9, v89, v105
	v_mul_f16_e64 v250, 0xbbf7, v114
	v_pk_add_f16 v92, v92, v239
	v_pk_add_f16 v249, v93, v249
	v_fma_f16 v105, v89, 0x39e9, -v105
	v_add_f16_e64 v93, v88, v245
	v_fma_f16 v239, 0x2de8, v86, v250
	v_lshrrev_b32_e32 v245, 16, v86
	v_fma_f16 v250, v86, 0x2de8, -v250
	v_add_f16_e32 v105, v88, v105
	v_bfi_b32 v96, 0xffff, v96, v99
	v_add_f16_e64 v239, v239, v93
	v_mul_f16_e64 v93, 0x2de8, v245
	s_delay_alu instid0(VALU_DEP_4) | instskip(SKIP_2) | instid1(VALU_DEP_3)
	v_add_f16_e64 v105, v250, v105
	v_mul_f16_e64 v250, 0xbb29, v111
	s_barrier
	v_fma_f16 v251, 0x3bf7, v82, v93
	v_fmac_f16_e32 v93, 0xbbf7, v82
	buffer_gl0_inv
	v_add_f16_e64 v247, v251, v247
	v_add_f16_e32 v107, v93, v107
	v_fma_f16 v93, 0x3722, v89, v250
	v_mul_f16_e64 v251, 0xba62, v114
	v_fma_f16 v250, v89, 0x3722, -v250
	s_delay_alu instid0(VALU_DEP_3) | instskip(NEXT) | instid1(VALU_DEP_3)
	v_add_f16_e32 v93, v88, v93
	v_fma_f16 v252, 0xb8d2, v86, v251
	s_delay_alu instid0(VALU_DEP_3) | instskip(SKIP_1) | instid1(VALU_DEP_3)
	v_add_f16_e64 v250, v88, v250
	v_fma_f16 v251, v86, 0xb8d2, -v251
	v_add_f16_e64 v252, v252, v93
	v_mul_f16_e64 v93, 0xb8d2, v245
	s_delay_alu instid0(VALU_DEP_3) | instskip(NEXT) | instid1(VALU_DEP_2)
	v_add_f16_e64 v250, v251, v250
	v_fma_f16 v253, 0x3a62, v82, v93
	v_fmac_f16_e32 v93, 0xba62, v82
	s_delay_alu instid0(VALU_DEP_2) | instskip(NEXT) | instid1(VALU_DEP_2)
	v_add_f16_e64 v119, v253, v119
	v_add_f16_e32 v115, v93, v115
	v_mul_f16_e32 v93, 0xbbf7, v111
	v_mul_f16_e64 v253, 0xb1e1, v114
	s_delay_alu instid0(VALU_DEP_2) | instskip(NEXT) | instid1(VALU_DEP_2)
	v_fma_f16 v251, 0x2de8, v89, v93
	v_fma_f16 v254, 0xbbdd, v86, v253
	v_fma_f16 v93, v89, 0x2de8, -v93
	v_fma_f16 v253, v86, 0xbbdd, -v253
	s_delay_alu instid0(VALU_DEP_4) | instskip(NEXT) | instid1(VALU_DEP_3)
	v_add_f16_e64 v251, v88, v251
	v_add_f16_e32 v93, v88, v93
	s_delay_alu instid0(VALU_DEP_2) | instskip(SKIP_1) | instid1(VALU_DEP_3)
	v_add_f16_e64 v251, v254, v251
	v_mul_f16_e64 v254, 0xbbdd, v245
	v_add_f16_e64 v253, v253, v93
	v_mul_f16_e32 v93, 0xbbb2, v111
	s_delay_alu instid0(VALU_DEP_3) | instskip(SKIP_1) | instid1(VALU_DEP_2)
	v_fma_f16 v255, 0x31e1, v82, v254
	v_fmac_f16_e64 v254, 0xb1e1, v82
	v_add_f16_e64 v248, v255, v248
	s_delay_alu instid0(VALU_DEP_2) | instskip(SKIP_3) | instid1(VALU_DEP_3)
	v_add_f16_e64 v118, v254, v118
	v_fma_f16 v254, 0xb461, v89, v93
	v_mul_f16_e64 v255, 0x3836, v114
	v_fma_f16 v93, v89, 0xb461, -v93
	v_add_f16_e64 v254, v88, v254
	s_delay_alu instid0(VALU_DEP_3) | instskip(NEXT) | instid1(VALU_DEP_3)
	v_fma_f16 v122, 0xbacd, v86, v255
	v_add_f16_e32 v93, v88, v93
	s_delay_alu instid0(VALU_DEP_2) | instskip(SKIP_1) | instid1(VALU_DEP_1)
	v_add_f16_e64 v122, v122, v254
	v_mul_f16_e64 v254, 0xbacd, v245
	v_fma_f16 v123, 0xb836, v82, v254
	v_fmac_f16_e64 v254, 0x3836, v82
	s_delay_alu instid0(VALU_DEP_2) | instskip(SKIP_1) | instid1(VALU_DEP_3)
	v_add_f16_e32 v97, v123, v97
	v_fma_f16 v123, v86, 0xbacd, -v255
	v_add_f16_e64 v143, v254, v143
	v_mul_f16_e64 v255, 0x3bb2, v114
	s_delay_alu instid0(VALU_DEP_3) | instskip(SKIP_1) | instid1(VALU_DEP_3)
	v_add_f16_e32 v123, v123, v93
	v_mul_f16_e32 v93, 0xba62, v111
	v_fma_f16 v126, 0xb461, v86, v255
	s_delay_alu instid0(VALU_DEP_2) | instskip(SKIP_1) | instid1(VALU_DEP_2)
	v_fma_f16 v254, 0xb8d2, v89, v93
	v_fma_f16 v93, v89, 0xb8d2, -v93
	v_add_f16_e64 v254, v88, v254
	s_delay_alu instid0(VALU_DEP_2) | instskip(NEXT) | instid1(VALU_DEP_2)
	v_add_f16_e32 v93, v88, v93
	v_add_f16_e64 v126, v126, v254
	v_mul_f16_e64 v254, 0xb461, v245
	s_delay_alu instid0(VALU_DEP_1) | instskip(SKIP_1) | instid1(VALU_DEP_2)
	v_fma_f16 v127, 0xbbb2, v82, v254
	v_fmac_f16_e64 v254, 0x3bb2, v82
	v_add_f16_e32 v127, v127, v94
	v_fma_f16 v94, v86, 0xb461, -v255
	s_delay_alu instid0(VALU_DEP_3) | instskip(NEXT) | instid1(VALU_DEP_2)
	v_add_f16_e64 v246, v254, v246
	v_add_f16_e64 v255, v94, v93
	v_mul_f16_e32 v93, 0xb836, v111
	v_mul_f16_e32 v94, 0x3b29, v114
	s_delay_alu instid0(VALU_DEP_2) | instskip(NEXT) | instid1(VALU_DEP_2)
	v_fmamk_f16 v111, v89, 0xbacd, v93
	v_fmamk_f16 v114, v86, 0x3722, v94
	v_fma_f16 v93, v89, 0xbacd, -v93
	v_fma_f16 v94, v86, 0x3722, -v94
	v_pk_mul_f16 v89, 0xbbdd, v89 op_sel_hi:[0,1]
	v_add_f16_e32 v111, v88, v111
	v_pk_mul_f16 v86, 0x3b76, v86 op_sel_hi:[0,1]
	v_add_f16_e32 v93, v88, v93
	s_delay_alu instid0(VALU_DEP_3) | instskip(SKIP_1) | instid1(VALU_DEP_1)
	v_add_f16_e32 v111, v114, v111
	v_mul_f16_e64 v114, 0x3722, v245
	v_fma_f16 v245, 0xbb29, v82, v114
	v_fmac_f16_e32 v114, 0x3b29, v82
	s_delay_alu instid0(VALU_DEP_2) | instskip(SKIP_2) | instid1(VALU_DEP_4)
	v_add_f16_e64 v95, v245, v95
	v_add_f16_e64 v245, v94, v93
	v_pk_mul_f16 v94, 0xbb29, v102 op_sel_hi:[0,1]
	v_add_f16_e32 v109, v114, v109
	s_delay_alu instid0(VALU_DEP_2) | instskip(SKIP_1) | instid1(VALU_DEP_1)
	v_pk_fma_f16 v93, 0x3722, v103, v94 op_sel:[0,0,1] op_sel_hi:[0,1,0]
	v_pk_fma_f16 v94, 0x3722, v103, v94 op_sel:[0,0,1] op_sel_hi:[0,1,0] neg_lo:[0,0,1] neg_hi:[0,0,1]
	v_bfi_b32 v114, 0xffff, v93, v94
	v_bfi_b32 v93, 0xffff, v94, v93
	s_delay_alu instid0(VALU_DEP_2) | instskip(SKIP_1) | instid1(VALU_DEP_1)
	v_pk_add_f16 v114, v114, v249
	v_lshrrev_b32_e32 v249, 16, v102
	v_mul_f16_e64 v254, 0xba62, v249
	s_delay_alu instid0(VALU_DEP_1) | instskip(NEXT) | instid1(VALU_DEP_1)
	v_fma_f16 v130, 0xb8d2, v103, v254
	v_add_f16_e64 v130, v130, v239
	v_lshrrev_b32_e32 v239, 16, v103
	s_delay_alu instid0(VALU_DEP_1) | instskip(NEXT) | instid1(VALU_DEP_1)
	v_mul_f16_e64 v131, 0xb8d2, v239
	v_fma_f16 v135, 0x3a62, v102, v131
	v_fmac_f16_e64 v131, 0xba62, v102
	s_delay_alu instid0(VALU_DEP_2) | instskip(SKIP_1) | instid1(VALU_DEP_3)
	v_add_f16_e64 v135, v135, v247
	v_fma_f16 v247, v103, 0xb8d2, -v254
	v_add_f16_e64 v107, v131, v107
	v_mul_f16_e64 v131, 0x31e1, v249
	s_delay_alu instid0(VALU_DEP_3) | instskip(NEXT) | instid1(VALU_DEP_2)
	v_add_f16_e64 v105, v247, v105
	v_fma_f16 v247, 0xbbdd, v103, v131
	v_fma_f16 v131, v103, 0xbbdd, -v131
	s_delay_alu instid0(VALU_DEP_2) | instskip(SKIP_1) | instid1(VALU_DEP_3)
	v_add_f16_e64 v247, v247, v252
	v_mul_f16_e64 v252, 0xbbdd, v239
	v_add_f16_e64 v131, v131, v250
	v_mul_f16_e64 v250, 0x3bb2, v249
	s_delay_alu instid0(VALU_DEP_3) | instskip(SKIP_1) | instid1(VALU_DEP_2)
	v_fma_f16 v254, 0xb1e1, v102, v252
	v_fmac_f16_e64 v252, 0x31e1, v102
	v_add_f16_e64 v119, v254, v119
	s_delay_alu instid0(VALU_DEP_2) | instskip(SKIP_2) | instid1(VALU_DEP_2)
	v_add_f16_e64 v115, v252, v115
	v_fma_f16 v252, 0xb461, v103, v250
	v_fma_f16 v250, v103, 0xb461, -v250
	v_add_f16_e64 v251, v252, v251
	v_mul_f16_e64 v252, 0xb461, v239
	s_delay_alu instid0(VALU_DEP_3) | instskip(NEXT) | instid1(VALU_DEP_2)
	v_add_f16_e64 v250, v250, v253
	v_fma_f16 v254, 0xbbb2, v102, v252
	v_fmac_f16_e64 v252, 0x3bb2, v102
	s_delay_alu instid0(VALU_DEP_2) | instskip(NEXT) | instid1(VALU_DEP_2)
	v_add_f16_e64 v248, v254, v248
	v_add_f16_e64 v118, v252, v118
	v_mul_f16_e64 v252, 0x3964, v249
	s_delay_alu instid0(VALU_DEP_1) | instskip(NEXT) | instid1(VALU_DEP_1)
	v_fma_f16 v253, 0x39e9, v103, v252
	v_add_f16_e64 v122, v253, v122
	v_mul_f16_e64 v253, 0x39e9, v239
	s_delay_alu instid0(VALU_DEP_1) | instskip(SKIP_1) | instid1(VALU_DEP_2)
	v_fma_f16 v254, 0xb964, v102, v253
	v_fmac_f16_e64 v253, 0x3964, v102
	v_add_f16_e64 v254, v254, v97
	v_fma_f16 v97, v103, 0x39e9, -v252
	s_delay_alu instid0(VALU_DEP_3) | instskip(NEXT) | instid1(VALU_DEP_2)
	v_add_f16_e64 v143, v253, v143
	v_add_f16_e32 v123, v97, v123
	v_mul_f16_e64 v97, 0xb5c8, v249
	s_delay_alu instid0(VALU_DEP_1) | instskip(SKIP_1) | instid1(VALU_DEP_2)
	v_fma_f16 v252, 0x3b76, v103, v97
	v_fma_f16 v97, v103, 0x3b76, -v97
	v_add_f16_e64 v126, v252, v126
	v_mul_f16_e64 v252, 0x3b76, v239
	v_mul_f16_e64 v239, 0x2de8, v239
	s_delay_alu instid0(VALU_DEP_2) | instskip(SKIP_1) | instid1(VALU_DEP_2)
	v_fma_f16 v253, 0x35c8, v102, v252
	v_fmac_f16_e64 v252, 0xb5c8, v102
	v_add_f16_e64 v127, v253, v127
	v_add_f16_e64 v253, v97, v255
	v_mul_f16_e64 v97, 0xbbf7, v249
	s_delay_alu instid0(VALU_DEP_4) | instskip(NEXT) | instid1(VALU_DEP_2)
	v_add_f16_e64 v246, v252, v246
	v_fma_f16 v249, 0x2de8, v103, v97
	s_delay_alu instid0(VALU_DEP_1) | instskip(SKIP_2) | instid1(VALU_DEP_2)
	v_add_f16_e64 v111, v249, v111
	v_fma_f16 v249, 0x3bf7, v102, v239
	v_fmac_f16_e64 v239, 0xbbf7, v102
	v_add_f16_e64 v249, v249, v95
	v_fma_f16 v95, v103, 0x2de8, -v97
	v_pk_mul_f16 v97, 0xbbf7, v237 op_sel_hi:[0,1]
	s_delay_alu instid0(VALU_DEP_4) | instskip(NEXT) | instid1(VALU_DEP_3)
	v_add_f16_e64 v109, v239, v109
	v_add_f16_e64 v245, v95, v245
	s_delay_alu instid0(VALU_DEP_3) | instskip(SKIP_1) | instid1(VALU_DEP_1)
	v_pk_fma_f16 v95, 0x2de8, v100, v97 op_sel:[0,0,1] op_sel_hi:[0,1,0]
	v_pk_fma_f16 v97, 0x2de8, v100, v97 op_sel:[0,0,1] op_sel_hi:[0,1,0] neg_lo:[0,0,1] neg_hi:[0,0,1]
	v_bfi_b32 v239, 0xffff, v95, v97
	s_delay_alu instid0(VALU_DEP_1) | instskip(SKIP_1) | instid1(VALU_DEP_1)
	v_pk_add_f16 v114, v239, v114
	v_lshrrev_b32_e32 v239, 16, v237
	v_mul_f16_e64 v252, 0xb1e1, v239
	s_delay_alu instid0(VALU_DEP_1) | instskip(NEXT) | instid1(VALU_DEP_1)
	v_fma_f16 v255, 0xbbdd, v100, v252
	v_add_f16_e64 v130, v255, v130
	v_lshrrev_b32_e32 v255, 16, v100
	s_delay_alu instid0(VALU_DEP_1) | instskip(NEXT) | instid1(VALU_DEP_1)
	v_mul_f16_e64 v137, 0xbbdd, v255
	v_fma_f16 v139, 0x31e1, v237, v137
	v_fmac_f16_e64 v137, 0xb1e1, v237
	s_delay_alu instid0(VALU_DEP_2) | instskip(SKIP_1) | instid1(VALU_DEP_3)
	v_add_f16_e64 v135, v139, v135
	v_fma_f16 v139, v100, 0xbbdd, -v252
	v_add_f16_e64 v107, v137, v107
	v_mul_f16_e64 v137, 0x3bb2, v239
	s_delay_alu instid0(VALU_DEP_3) | instskip(NEXT) | instid1(VALU_DEP_2)
	v_add_f16_e64 v105, v139, v105
	v_fma_f16 v139, 0xb461, v100, v137
	v_fma_f16 v137, v100, 0xb461, -v137
	s_delay_alu instid0(VALU_DEP_2) | instskip(SKIP_1) | instid1(VALU_DEP_3)
	v_add_f16_e64 v139, v139, v247
	v_mul_f16_e64 v247, 0xb461, v255
	v_add_f16_e64 v131, v137, v131
	v_mul_f16_e64 v137, 0x35c8, v239
	s_delay_alu instid0(VALU_DEP_3) | instskip(SKIP_1) | instid1(VALU_DEP_2)
	v_fma_f16 v252, 0xbbb2, v237, v247
	v_fmac_f16_e64 v247, 0x3bb2, v237
	v_add_f16_e64 v119, v252, v119
	s_delay_alu instid0(VALU_DEP_2) | instskip(SKIP_2) | instid1(VALU_DEP_2)
	v_add_f16_e64 v115, v247, v115
	v_fma_f16 v247, 0x3b76, v100, v137
	v_fma_f16 v137, v100, 0x3b76, -v137
	v_add_f16_e64 v247, v247, v251
	v_mul_f16_e64 v251, 0x3b76, v255
	s_delay_alu instid0(VALU_DEP_3) | instskip(SKIP_1) | instid1(VALU_DEP_3)
	v_add_f16_e64 v137, v137, v250
	v_mul_f16_e64 v250, 0xbb29, v239
	v_fma_f16 v252, 0xb5c8, v237, v251
	v_fmac_f16_e64 v251, 0x35c8, v237
	s_delay_alu instid0(VALU_DEP_2) | instskip(NEXT) | instid1(VALU_DEP_2)
	v_add_f16_e64 v248, v252, v248
	v_add_f16_e64 v118, v251, v118
	v_fma_f16 v251, 0x3722, v100, v250
	v_fma_f16 v250, v100, 0x3722, -v250
	s_delay_alu instid0(VALU_DEP_2) | instskip(SKIP_1) | instid1(VALU_DEP_3)
	v_add_f16_e64 v122, v251, v122
	v_mul_f16_e64 v251, 0x3722, v255
	v_add_f16_e64 v123, v250, v123
	v_mul_f16_e64 v250, 0xb836, v239
	v_mul_f16_e64 v239, 0x3a62, v239
	s_delay_alu instid0(VALU_DEP_4) | instskip(SKIP_1) | instid1(VALU_DEP_2)
	v_fma_f16 v252, 0x3b29, v237, v251
	v_fmac_f16_e64 v251, 0xbb29, v237
	v_add_f16_e64 v252, v252, v254
	s_delay_alu instid0(VALU_DEP_2) | instskip(SKIP_2) | instid1(VALU_DEP_2)
	v_add_f16_e64 v143, v251, v143
	v_fma_f16 v251, 0xbacd, v100, v250
	v_fma_f16 v250, v100, 0xbacd, -v250
	v_add_f16_e64 v126, v251, v126
	v_mul_f16_e64 v251, 0xbacd, v255
	s_delay_alu instid0(VALU_DEP_3) | instskip(NEXT) | instid1(VALU_DEP_2)
	v_add_f16_e64 v250, v250, v253
	v_fma_f16 v254, 0x3836, v237, v251
	v_fmac_f16_e64 v251, 0xb836, v237
	s_delay_alu instid0(VALU_DEP_2) | instskip(NEXT) | instid1(VALU_DEP_2)
	v_add_f16_e64 v127, v254, v127
	v_add_f16_e64 v246, v251, v246
	v_fma_f16 v251, 0xb8d2, v100, v239
	v_fma_f16 v239, v100, 0xb8d2, -v239
	s_delay_alu instid0(VALU_DEP_2) | instskip(SKIP_1) | instid1(VALU_DEP_1)
	v_add_f16_e64 v111, v251, v111
	v_mul_f16_e64 v251, 0xb8d2, v255
	v_fma_f16 v253, 0xba62, v237, v251
	v_fmac_f16_e64 v251, 0x3a62, v237
	s_delay_alu instid0(VALU_DEP_2) | instskip(SKIP_2) | instid1(VALU_DEP_4)
	v_add_f16_e64 v249, v253, v249
	v_add_f16_e64 v253, v239, v245
	v_pk_mul_f16 v245, 0xbbb2, v238 op_sel_hi:[0,1]
	v_add_f16_e64 v109, v251, v109
	s_delay_alu instid0(VALU_DEP_2) | instskip(SKIP_1) | instid1(VALU_DEP_1)
	v_pk_fma_f16 v239, 0xb461, v101, v245 op_sel:[0,0,1] op_sel_hi:[0,1,0]
	v_pk_fma_f16 v245, 0xb461, v101, v245 op_sel:[0,0,1] op_sel_hi:[0,1,0] neg_lo:[0,0,1] neg_hi:[0,0,1]
	v_bfi_b32 v251, 0xffff, v239, v245
	s_delay_alu instid0(VALU_DEP_1) | instskip(SKIP_1) | instid1(VALU_DEP_1)
	v_pk_add_f16 v114, v251, v114
	v_lshrrev_b32_e32 v251, 16, v238
	v_mul_f16_e64 v254, 0x3836, v251
	s_delay_alu instid0(VALU_DEP_1) | instskip(NEXT) | instid1(VALU_DEP_1)
	v_fma_f16 v255, 0xbacd, v101, v254
	v_add_f16_e64 v130, v255, v130
	v_lshrrev_b32_e32 v255, 16, v101
	s_delay_alu instid0(VALU_DEP_1) | instskip(NEXT) | instid1(VALU_DEP_1)
	v_mul_f16_e64 v140, 0xbacd, v255
	v_fma_f16 v145, 0xb836, v238, v140
	v_fmac_f16_e64 v140, 0x3836, v238
	s_delay_alu instid0(VALU_DEP_2) | instskip(SKIP_1) | instid1(VALU_DEP_3)
	v_add_f16_e64 v135, v145, v135
	v_fma_f16 v145, v101, 0xbacd, -v254
	v_add_f16_e64 v107, v140, v107
	v_mul_f16_e64 v140, 0x3964, v251
	s_delay_alu instid0(VALU_DEP_3) | instskip(NEXT) | instid1(VALU_DEP_2)
	v_add_f16_e64 v105, v145, v105
	v_fma_f16 v145, 0x39e9, v101, v140
	v_fma_f16 v140, v101, 0x39e9, -v140
	s_delay_alu instid0(VALU_DEP_2) | instskip(SKIP_1) | instid1(VALU_DEP_3)
	v_add_f16_e64 v139, v145, v139
	v_mul_f16_e64 v145, 0x39e9, v255
	v_add_f16_e64 v131, v140, v131
	v_mul_f16_e64 v140, 0xbb29, v251
	s_delay_alu instid0(VALU_DEP_3) | instskip(SKIP_1) | instid1(VALU_DEP_2)
	v_fma_f16 v254, 0xb964, v238, v145
	v_fmac_f16_e64 v145, 0x3964, v238
	v_add_f16_e64 v119, v254, v119
	s_delay_alu instid0(VALU_DEP_2) | instskip(SKIP_2) | instid1(VALU_DEP_2)
	v_add_f16_e64 v115, v145, v115
	v_fma_f16 v145, 0x3722, v101, v140
	v_fma_f16 v140, v101, 0x3722, -v140
	v_add_f16_e64 v145, v145, v247
	v_mul_f16_e64 v247, 0x3722, v255
	s_delay_alu instid0(VALU_DEP_3) | instskip(SKIP_1) | instid1(VALU_DEP_3)
	v_add_f16_e64 v137, v140, v137
	v_mul_f16_e64 v140, 0xb1e1, v251
	v_fma_f16 v254, 0x3b29, v238, v247
	v_fmac_f16_e64 v247, 0xbb29, v238
	s_delay_alu instid0(VALU_DEP_2) | instskip(NEXT) | instid1(VALU_DEP_2)
	v_add_f16_e64 v248, v254, v248
	v_add_f16_e64 v118, v247, v118
	v_fma_f16 v247, 0xbbdd, v101, v140
	v_fma_f16 v140, v101, 0xbbdd, -v140
	s_delay_alu instid0(VALU_DEP_2) | instskip(SKIP_1) | instid1(VALU_DEP_3)
	v_add_f16_e64 v122, v247, v122
	v_mul_f16_e64 v247, 0xbbdd, v255
	v_add_f16_e64 v123, v140, v123
	s_delay_alu instid0(VALU_DEP_2) | instskip(SKIP_1) | instid1(VALU_DEP_2)
	v_fma_f16 v254, 0x31e1, v238, v247
	v_fmac_f16_e64 v247, 0xb1e1, v238
	v_add_f16_e64 v252, v254, v252
	s_delay_alu instid0(VALU_DEP_2) | instskip(SKIP_1) | instid1(VALU_DEP_1)
	v_add_f16_e64 v140, v247, v143
	v_mul_f16_e64 v143, 0x3bf7, v251
	v_fma_f16 v247, 0x2de8, v101, v143
	v_fma_f16 v143, v101, 0x2de8, -v143
	s_delay_alu instid0(VALU_DEP_2) | instskip(SKIP_1) | instid1(VALU_DEP_3)
	v_add_f16_e64 v126, v247, v126
	v_mul_f16_e64 v247, 0x2de8, v255
	v_add_f16_e64 v143, v143, v250
	s_delay_alu instid0(VALU_DEP_2) | instskip(SKIP_1) | instid1(VALU_DEP_2)
	v_fma_f16 v254, 0xbbf7, v238, v247
	v_fmac_f16_e64 v247, 0x3bf7, v238
	v_add_f16_e64 v127, v254, v127
	s_delay_alu instid0(VALU_DEP_2) | instskip(SKIP_1) | instid1(VALU_DEP_1)
	v_add_f16_e64 v250, v247, v246
	v_mul_f16_e64 v246, 0xb5c8, v251
	v_fma_f16 v247, 0x3b76, v101, v246
	v_fma_f16 v246, v101, 0x3b76, -v246
	s_delay_alu instid0(VALU_DEP_2) | instskip(SKIP_1) | instid1(VALU_DEP_1)
	v_add_f16_e64 v111, v247, v111
	v_mul_f16_e64 v247, 0x3b76, v255
	v_fma_f16 v251, 0x35c8, v238, v247
	v_fmac_f16_e64 v247, 0xb5c8, v238
	s_delay_alu instid0(VALU_DEP_2) | instskip(NEXT) | instid1(VALU_DEP_2)
	v_add_f16_e64 v249, v251, v249
	v_add_f16_e64 v109, v247, v109
	v_pk_mul_f16 v247, 0xba62, v240 op_sel_hi:[0,1]
	v_add_f16_e64 v251, v246, v253
	s_delay_alu instid0(VALU_DEP_2) | instskip(SKIP_1) | instid1(VALU_DEP_1)
	v_pk_fma_f16 v246, 0xb8d2, v241, v247 op_sel:[0,0,1] op_sel_hi:[0,1,0]
	v_pk_fma_f16 v247, 0xb8d2, v241, v247 op_sel:[0,0,1] op_sel_hi:[0,1,0] neg_lo:[0,0,1] neg_hi:[0,0,1]
	v_bfi_b32 v253, 0xffff, v246, v247
	s_delay_alu instid0(VALU_DEP_1) | instskip(SKIP_1) | instid1(VALU_DEP_1)
	v_pk_add_f16 v114, v253, v114
	v_lshrrev_b32_e32 v253, 16, v240
	v_mul_f16_e64 v254, 0x3bb2, v253
	s_delay_alu instid0(VALU_DEP_1) | instskip(NEXT) | instid1(VALU_DEP_1)
	v_fma_f16 v255, 0xb461, v241, v254
	v_add_f16_e64 v130, v255, v130
	v_lshrrev_b32_e32 v255, 16, v241
	s_delay_alu instid0(VALU_DEP_1) | instskip(NEXT) | instid1(VALU_DEP_1)
	v_mul_f16_e64 v146, 0xb461, v255
	v_fma_f16 v147, 0xbbb2, v240, v146
	v_fmac_f16_e64 v146, 0x3bb2, v240
	s_delay_alu instid0(VALU_DEP_2) | instskip(SKIP_1) | instid1(VALU_DEP_3)
	v_add_f16_e64 v135, v147, v135
	v_fma_f16 v147, v241, 0xb461, -v254
	v_add_f16_e64 v107, v146, v107
	v_mul_f16_e64 v146, 0xb5c8, v253
	s_delay_alu instid0(VALU_DEP_3) | instskip(NEXT) | instid1(VALU_DEP_2)
	v_add_f16_e64 v105, v147, v105
	v_fma_f16 v147, 0x3b76, v241, v146
	v_fma_f16 v146, v241, 0x3b76, -v146
	s_delay_alu instid0(VALU_DEP_2) | instskip(SKIP_1) | instid1(VALU_DEP_3)
	v_add_f16_e64 v139, v147, v139
	v_mul_f16_e64 v147, 0x3b76, v255
	v_add_f16_e64 v131, v146, v131
	v_mul_f16_e64 v146, 0xb836, v253
	s_delay_alu instid0(VALU_DEP_3) | instskip(SKIP_1) | instid1(VALU_DEP_2)
	v_fma_f16 v254, 0x35c8, v240, v147
	v_fmac_f16_e64 v147, 0xb5c8, v240
	v_add_f16_e64 v119, v254, v119
	s_delay_alu instid0(VALU_DEP_2) | instskip(SKIP_2) | instid1(VALU_DEP_2)
	v_add_f16_e64 v115, v147, v115
	v_fma_f16 v147, 0xbacd, v241, v146
	v_fma_f16 v146, v241, 0xbacd, -v146
	v_add_f16_e64 v145, v147, v145
	v_mul_f16_e64 v147, 0xbacd, v255
	s_delay_alu instid0(VALU_DEP_3) | instskip(SKIP_1) | instid1(VALU_DEP_3)
	v_add_f16_e64 v137, v146, v137
	v_mul_f16_e64 v146, 0x3bf7, v253
	v_fma_f16 v254, 0x3836, v240, v147
	v_fmac_f16_e64 v147, 0xb836, v240
	s_delay_alu instid0(VALU_DEP_2) | instskip(NEXT) | instid1(VALU_DEP_2)
	v_add_f16_e64 v248, v254, v248
	v_add_f16_e64 v118, v147, v118
	v_fma_f16 v147, 0x2de8, v241, v146
	v_fma_f16 v146, v241, 0x2de8, -v146
	s_delay_alu instid0(VALU_DEP_2) | instskip(SKIP_1) | instid1(VALU_DEP_3)
	v_add_f16_e64 v122, v147, v122
	v_mul_f16_e64 v147, 0x2de8, v255
	v_add_f16_e64 v123, v146, v123
	v_mul_f16_e64 v146, 0xb964, v253
	s_delay_alu instid0(VALU_DEP_3) | instskip(SKIP_1) | instid1(VALU_DEP_2)
	v_fma_f16 v254, 0xbbf7, v240, v147
	v_fmac_f16_e64 v147, 0x3bf7, v240
	v_add_f16_e64 v252, v254, v252
	s_delay_alu instid0(VALU_DEP_2) | instskip(SKIP_2) | instid1(VALU_DEP_2)
	v_add_f16_e64 v140, v147, v140
	v_fma_f16 v147, 0x39e9, v241, v146
	v_fma_f16 v146, v241, 0x39e9, -v146
	v_add_f16_e64 v126, v147, v126
	v_mul_f16_e64 v147, 0x39e9, v255
	s_delay_alu instid0(VALU_DEP_3) | instskip(NEXT) | instid1(VALU_DEP_2)
	v_add_f16_e64 v143, v146, v143
	v_fma_f16 v254, 0x3964, v240, v147
	v_fmac_f16_e64 v147, 0xb964, v240
	s_delay_alu instid0(VALU_DEP_2) | instskip(NEXT) | instid1(VALU_DEP_2)
	v_add_f16_e64 v127, v254, v127
	v_add_f16_e64 v146, v147, v250
	v_mul_f16_e64 v147, 0xb1e1, v253
	s_delay_alu instid0(VALU_DEP_1) | instskip(SKIP_1) | instid1(VALU_DEP_2)
	v_fma_f16 v250, 0xbbdd, v241, v147
	v_fma_f16 v147, v241, 0xbbdd, -v147
	v_add_f16_e64 v111, v250, v111
	v_mul_f16_e64 v250, 0xbbdd, v255
	s_delay_alu instid0(VALU_DEP_3) | instskip(NEXT) | instid1(VALU_DEP_2)
	v_add_f16_e64 v147, v147, v251
	v_fma_f16 v253, 0x31e1, v240, v250
	v_fmac_f16_e64 v250, 0xb1e1, v240
	s_delay_alu instid0(VALU_DEP_2) | instskip(NEXT) | instid1(VALU_DEP_2)
	v_add_f16_e64 v249, v253, v249
	v_add_f16_e64 v109, v250, v109
	v_pk_mul_f16 v250, 0xb836, v98 op_sel_hi:[0,1]
	s_delay_alu instid0(VALU_DEP_1) | instskip(SKIP_1) | instid1(VALU_DEP_1)
	v_pk_fma_f16 v251, 0xbacd, v242, v250 op_sel:[0,0,1] op_sel_hi:[0,1,0]
	v_pk_fma_f16 v250, 0xbacd, v242, v250 op_sel:[0,0,1] op_sel_hi:[0,1,0] neg_lo:[0,0,1] neg_hi:[0,0,1]
	v_bfi_b32 v253, 0xffff, v251, v250
	s_delay_alu instid0(VALU_DEP_1) | instskip(SKIP_1) | instid1(VALU_DEP_1)
	v_pk_add_f16 v114, v253, v114
	v_lshrrev_b32_e32 v253, 16, v98
	v_mul_f16_e64 v254, 0x3b29, v253
	s_delay_alu instid0(VALU_DEP_1) | instskip(NEXT) | instid1(VALU_DEP_1)
	v_fma_f16 v255, 0x3722, v242, v254
	v_add_f16_e64 v130, v255, v130
	v_lshrrev_b32_e32 v255, 16, v242
	s_delay_alu instid0(VALU_DEP_1) | instskip(NEXT) | instid1(VALU_DEP_1)
	v_mul_f16_e64 v148, 0x3722, v255
	v_fma_f16 v149, 0xbb29, v98, v148
	v_fmac_f16_e64 v148, 0x3b29, v98
	s_delay_alu instid0(VALU_DEP_2) | instskip(SKIP_1) | instid1(VALU_DEP_3)
	v_add_f16_e64 v135, v149, v135
	v_fma_f16 v149, v242, 0x3722, -v254
	v_add_f16_e64 v107, v148, v107
	v_mul_f16_e64 v148, 0xbbf7, v253
	s_delay_alu instid0(VALU_DEP_3) | instskip(NEXT) | instid1(VALU_DEP_2)
	v_add_f16_e64 v105, v149, v105
	v_fma_f16 v149, 0x2de8, v242, v148
	v_fma_f16 v148, v242, 0x2de8, -v148
	s_delay_alu instid0(VALU_DEP_2) | instskip(SKIP_1) | instid1(VALU_DEP_3)
	v_add_f16_e64 v139, v149, v139
	v_mul_f16_e64 v149, 0x2de8, v255
	v_add_f16_e64 v131, v148, v131
	v_mul_f16_e64 v148, 0x3a62, v253
	s_delay_alu instid0(VALU_DEP_3) | instskip(SKIP_1) | instid1(VALU_DEP_2)
	v_fma_f16 v254, 0x3bf7, v98, v149
	v_fmac_f16_e64 v149, 0xbbf7, v98
	v_add_f16_e64 v119, v254, v119
	s_delay_alu instid0(VALU_DEP_2) | instskip(SKIP_2) | instid1(VALU_DEP_2)
	v_add_f16_e64 v115, v149, v115
	v_fma_f16 v149, 0xb8d2, v242, v148
	v_fma_f16 v148, v242, 0xb8d2, -v148
	v_add_f16_e64 v145, v149, v145
	v_mul_f16_e64 v149, 0xb8d2, v255
	s_delay_alu instid0(VALU_DEP_3) | instskip(SKIP_1) | instid1(VALU_DEP_3)
	v_add_f16_e64 v137, v148, v137
	v_mul_f16_e64 v148, 0xb5c8, v253
	v_fma_f16 v254, 0xba62, v98, v149
	v_fmac_f16_e64 v149, 0x3a62, v98
	s_delay_alu instid0(VALU_DEP_2) | instskip(NEXT) | instid1(VALU_DEP_2)
	v_add_f16_e64 v248, v254, v248
	v_add_f16_e64 v118, v149, v118
	v_fma_f16 v149, 0x3b76, v242, v148
	v_fma_f16 v148, v242, 0x3b76, -v148
	s_delay_alu instid0(VALU_DEP_2) | instskip(SKIP_1) | instid1(VALU_DEP_3)
	v_add_f16_e64 v122, v149, v122
	v_mul_f16_e64 v149, 0x3b76, v255
	v_add_f16_e64 v123, v148, v123
	v_mul_f16_e64 v148, 0xb1e1, v253
	s_delay_alu instid0(VALU_DEP_3) | instskip(SKIP_1) | instid1(VALU_DEP_2)
	v_fma_f16 v254, 0x35c8, v98, v149
	v_fmac_f16_e64 v149, 0xb5c8, v98
	v_add_f16_e64 v252, v254, v252
	s_delay_alu instid0(VALU_DEP_2) | instskip(SKIP_2) | instid1(VALU_DEP_2)
	v_add_f16_e64 v140, v149, v140
	v_fma_f16 v149, 0xbbdd, v242, v148
	v_fma_f16 v148, v242, 0xbbdd, -v148
	v_add_f16_e64 v126, v149, v126
	v_mul_f16_e64 v149, 0xbbdd, v255
	s_delay_alu instid0(VALU_DEP_3) | instskip(SKIP_2) | instid1(VALU_DEP_4)
	v_add_f16_e64 v143, v148, v143
	v_pk_add_f16 v148, v90, v91 neg_lo:[0,1] neg_hi:[0,1]
	v_pk_add_f16 v90, v91, v90
	v_fma_f16 v254, 0x31e1, v98, v149
	v_fmac_f16_e64 v149, 0xb1e1, v98
	s_delay_alu instid0(VALU_DEP_2) | instskip(NEXT) | instid1(VALU_DEP_2)
	v_add_f16_e64 v127, v254, v127
	v_add_f16_e64 v91, v149, v146
	v_mul_f16_e64 v146, 0x3964, v253
	s_delay_alu instid0(VALU_DEP_1) | instskip(SKIP_1) | instid1(VALU_DEP_2)
	v_fma_f16 v149, 0x39e9, v242, v146
	v_fma_f16 v146, v242, 0x39e9, -v146
	v_add_f16_e64 v111, v149, v111
	v_mul_f16_e64 v149, 0x39e9, v255
	s_delay_alu instid0(VALU_DEP_3) | instskip(SKIP_1) | instid1(VALU_DEP_3)
	v_add_f16_e64 v146, v146, v147
	v_pk_mul_f16 v147, 0xb1e1, v148 op_sel_hi:[0,1]
	v_fma_f16 v253, 0xb964, v98, v149
	v_fmac_f16_e64 v149, 0x3964, v98
	s_delay_alu instid0(VALU_DEP_2) | instskip(NEXT) | instid1(VALU_DEP_2)
	v_add_f16_e64 v249, v253, v249
	v_add_f16_e64 v109, v149, v109
	v_pk_fma_f16 v149, 0xbbdd, v90, v147 op_sel:[0,0,1] op_sel_hi:[0,1,0]
	v_pk_fma_f16 v147, 0xbbdd, v90, v147 op_sel:[0,0,1] op_sel_hi:[0,1,0] neg_lo:[0,0,1] neg_hi:[0,0,1]
	s_delay_alu instid0(VALU_DEP_1) | instskip(NEXT) | instid1(VALU_DEP_1)
	v_bfi_b32 v253, 0xffff, v149, v147
	v_pk_add_f16 v114, v253, v114
	v_lshrrev_b32_e32 v253, 16, v148
	s_delay_alu instid0(VALU_DEP_1) | instskip(NEXT) | instid1(VALU_DEP_1)
	v_mul_f16_e64 v254, 0x35c8, v253
	v_fma_f16 v255, 0x3b76, v90, v254
	s_delay_alu instid0(VALU_DEP_1) | instskip(SKIP_1) | instid1(VALU_DEP_1)
	v_add_f16_e64 v130, v255, v130
	v_lshrrev_b32_e32 v255, 16, v90
	v_mul_f16_e64 v150, 0x3b76, v255
	s_delay_alu instid0(VALU_DEP_1) | instskip(SKIP_1) | instid1(VALU_DEP_2)
	v_fma_f16 v151, 0xb5c8, v148, v150
	v_fmac_f16_e64 v150, 0x35c8, v148
	v_add_f16_e64 v135, v151, v135
	v_fma_f16 v151, v90, 0x3b76, -v254
	s_delay_alu instid0(VALU_DEP_3) | instskip(SKIP_1) | instid1(VALU_DEP_4)
	v_add_f16_e64 v107, v150, v107
	v_mul_f16_e64 v150, 0xb836, v253
	v_pack_b32_f16 v130, v130, v135
	s_delay_alu instid0(VALU_DEP_4) | instskip(SKIP_1) | instid1(VALU_DEP_4)
	v_add_f16_e64 v105, v151, v105
	v_pk_fma_f16 v135, 0xb1e1, v236, v89 op_sel:[0,0,1] op_sel_hi:[0,1,0]
	v_fma_f16 v151, 0xbacd, v90, v150
	v_fma_f16 v150, v90, 0xbacd, -v150
	v_pk_fma_f16 v89, 0xb1e1, v236, v89 op_sel:[0,0,1] op_sel_hi:[0,1,0] neg_lo:[0,1,0] neg_hi:[0,1,0]
	s_delay_alu instid0(VALU_DEP_3) | instskip(SKIP_1) | instid1(VALU_DEP_4)
	v_add_f16_e64 v139, v151, v139
	v_mul_f16_e64 v151, 0xbacd, v255
	v_add_f16_e64 v131, v150, v131
	v_mul_f16_e64 v150, 0x3964, v253
	v_pk_add_f16 v89, v88, v89 op_sel:[1,0] op_sel_hi:[0,1]
	s_delay_alu instid0(VALU_DEP_4) | instskip(SKIP_1) | instid1(VALU_DEP_2)
	v_fma_f16 v254, 0x3836, v148, v151
	v_fmac_f16_e64 v151, 0xb836, v148
	v_add_f16_e64 v119, v254, v119
	s_delay_alu instid0(VALU_DEP_2) | instskip(SKIP_2) | instid1(VALU_DEP_4)
	v_add_f16_e64 v115, v151, v115
	v_fma_f16 v151, 0x39e9, v90, v150
	v_fma_f16 v150, v90, 0x39e9, -v150
	v_pack_b32_f16 v119, v139, v119
	v_bfi_b32 v139, 0xffff, v244, v243
	s_delay_alu instid0(VALU_DEP_4) | instskip(SKIP_4) | instid1(VALU_DEP_4)
	v_add_f16_e64 v145, v151, v145
	v_mul_f16_e64 v151, 0x39e9, v255
	v_add_f16_e64 v137, v150, v137
	v_mul_f16_e64 v150, 0xba62, v253
	v_pk_add_f16 v139, v88, v139
	v_fma_f16 v254, 0xb964, v148, v151
	v_fmac_f16_e64 v151, 0x3964, v148
	s_delay_alu instid0(VALU_DEP_3) | instskip(NEXT) | instid1(VALU_DEP_3)
	v_pk_add_f16 v96, v96, v139
	v_add_f16_e64 v248, v254, v248
	s_delay_alu instid0(VALU_DEP_3) | instskip(SKIP_3) | instid1(VALU_DEP_3)
	v_add_f16_e64 v118, v151, v118
	v_fma_f16 v151, 0xb8d2, v90, v150
	v_fma_f16 v150, v90, 0xb8d2, -v150
	v_pk_add_f16 v93, v93, v96
	v_add_f16_e64 v122, v151, v122
	v_mul_f16_e64 v151, 0xb8d2, v255
	s_delay_alu instid0(VALU_DEP_4) | instskip(SKIP_1) | instid1(VALU_DEP_3)
	v_add_f16_e64 v123, v150, v123
	v_mul_f16_e64 v150, 0x3b29, v253
	v_fma_f16 v254, 0x3a62, v148, v151
	v_fmac_f16_e64 v151, 0xba62, v148
	s_delay_alu instid0(VALU_DEP_2) | instskip(NEXT) | instid1(VALU_DEP_2)
	v_add_f16_e64 v252, v254, v252
	v_add_f16_e64 v140, v151, v140
	v_fma_f16 v151, 0x3722, v90, v150
	v_fma_f16 v150, v90, 0x3722, -v150
	s_delay_alu instid0(VALU_DEP_4) | instskip(NEXT) | instid1(VALU_DEP_3)
	v_pack_b32_f16 v122, v122, v252
	v_add_f16_e64 v126, v151, v126
	v_mul_f16_e64 v151, 0x3722, v255
	s_delay_alu instid0(VALU_DEP_4) | instskip(SKIP_1) | instid1(VALU_DEP_3)
	v_add_f16_e64 v143, v150, v143
	v_mul_f16_e64 v150, 0xbbb2, v253
	v_fma_f16 v254, 0xbb29, v148, v151
	v_fmac_f16_e64 v151, 0x3b29, v148
	s_delay_alu instid0(VALU_DEP_2) | instskip(NEXT) | instid1(VALU_DEP_2)
	v_add_f16_e64 v127, v254, v127
	v_add_f16_e64 v91, v151, v91
	v_fma_f16 v151, 0xb461, v90, v150
	v_fma_f16 v150, v90, 0xb461, -v150
	v_pk_mul_f16 v90, 0x2de8, v90 op_sel_hi:[0,1]
	v_pack_b32_f16 v96, v126, v127
	s_delay_alu instid0(VALU_DEP_4) | instskip(SKIP_3) | instid1(VALU_DEP_3)
	v_add_f16_e64 v111, v151, v111
	v_mul_f16_e64 v151, 0xb461, v255
	v_add_f16_e64 v146, v150, v146
	v_alignbit_b32 v150, s0, v135, 16
	v_fma_f16 v253, 0x3bb2, v148, v151
	v_fmac_f16_e64 v151, 0xbbb2, v148
	s_delay_alu instid0(VALU_DEP_3) | instskip(SKIP_1) | instid1(VALU_DEP_4)
	v_pk_add_f16 v150, v88, v150
	v_alignbit_b32 v88, s0, v88, 16
	v_add_f16_e64 v249, v253, v249
	s_delay_alu instid0(VALU_DEP_4) | instskip(SKIP_3) | instid1(VALU_DEP_3)
	v_add_f16_e64 v109, v151, v109
	v_pk_fma_f16 v151, 0x35c8, v82, v86 op_sel:[0,0,1] op_sel_hi:[0,1,0]
	v_pk_fma_f16 v82, 0x35c8, v82, v86 op_sel:[0,0,1] op_sel_hi:[0,1,0] neg_lo:[0,1,0] neg_hi:[0,1,0]
	v_pk_add_f16 v86, v88, v135
	v_alignbit_b32 v88, s0, v151, 16
	s_delay_alu instid0(VALU_DEP_3) | instskip(SKIP_1) | instid1(VALU_DEP_4)
	v_pk_add_f16 v82, v82, v89
	v_pk_mul_f16 v89, 0xbacd, v103 op_sel_hi:[0,1]
	v_pk_add_f16 v86, v151, v86
	s_delay_alu instid0(VALU_DEP_4) | instskip(NEXT) | instid1(VALU_DEP_3)
	v_pk_add_f16 v88, v88, v150
	v_pk_fma_f16 v103, 0xb836, v102, v89 op_sel:[0,0,1] op_sel_hi:[0,1,0]
	v_pk_fma_f16 v89, 0xb836, v102, v89 op_sel:[0,0,1] op_sel_hi:[0,1,0] neg_lo:[0,1,0] neg_hi:[0,1,0]
	s_delay_alu instid0(VALU_DEP_2) | instskip(NEXT) | instid1(VALU_DEP_2)
	v_alignbit_b32 v102, s0, v103, 16
	v_pk_add_f16 v82, v89, v82
	v_pk_mul_f16 v89, 0x39e9, v100 op_sel_hi:[0,1]
	v_pk_add_f16 v86, v103, v86
	s_delay_alu instid0(VALU_DEP_4) | instskip(SKIP_1) | instid1(VALU_DEP_4)
	v_pk_add_f16 v88, v102, v88
	v_pack_b32_f16 v102, v145, v248
	v_pk_fma_f16 v100, 0x3964, v237, v89 op_sel:[0,0,1] op_sel_hi:[0,1,0]
	v_pk_fma_f16 v89, 0x3964, v237, v89 op_sel:[0,0,1] op_sel_hi:[0,1,0] neg_lo:[0,1,0] neg_hi:[0,1,0]
	s_delay_alu instid0(VALU_DEP_2) | instskip(NEXT) | instid1(VALU_DEP_2)
	v_alignbit_b32 v103, s0, v100, 16
	v_pk_add_f16 v82, v89, v82
	v_pk_mul_f16 v89, 0xb8d2, v101 op_sel_hi:[0,1]
	v_pk_add_f16 v86, v100, v86
	s_delay_alu instid0(VALU_DEP_4) | instskip(SKIP_1) | instid1(VALU_DEP_4)
	v_pk_add_f16 v88, v103, v88
	v_pack_b32_f16 v103, v111, v249
	v_pk_fma_f16 v101, 0xba62, v238, v89 op_sel:[0,0,1] op_sel_hi:[0,1,0]
	v_pk_fma_f16 v89, 0xba62, v238, v89 op_sel:[0,0,1] op_sel_hi:[0,1,0] neg_lo:[0,1,0] neg_hi:[0,1,0]
	ds_store_2addr_b32 v144, v92, v114 offset1:1
	ds_store_2addr_b32 v144, v130, v119 offset0:2 offset1:3
	ds_store_2addr_b32 v144, v102, v122 offset0:4 offset1:5
	;; [unrolled: 1-line block ×3, first 2 shown]
	v_pack_b32_f16 v92, v137, v118
	v_alignbit_b32 v100, s0, v101, 16
	v_pk_add_f16 v82, v89, v82
	v_pk_mul_f16 v89, 0x3722, v241 op_sel_hi:[0,1]
	v_pk_add_f16 v86, v101, v86
	s_delay_alu instid0(VALU_DEP_4) | instskip(NEXT) | instid1(VALU_DEP_3)
	v_pk_add_f16 v88, v100, v88
	v_pk_fma_f16 v100, 0x3b29, v240, v89 op_sel:[0,0,1] op_sel_hi:[0,1,0]
	v_pk_fma_f16 v89, 0x3b29, v240, v89 op_sel:[0,0,1] op_sel_hi:[0,1,0] neg_lo:[0,1,0] neg_hi:[0,1,0]
	s_delay_alu instid0(VALU_DEP_2) | instskip(NEXT) | instid1(VALU_DEP_2)
	v_alignbit_b32 v99, s0, v100, 16
	v_pk_add_f16 v82, v89, v82
	v_pk_mul_f16 v89, 0xb461, v242 op_sel_hi:[0,1]
	v_pk_add_f16 v86, v100, v86
	s_delay_alu instid0(VALU_DEP_4) | instskip(NEXT) | instid1(VALU_DEP_3)
	v_pk_add_f16 v88, v99, v88
	v_pk_fma_f16 v99, 0xbbb2, v98, v89 op_sel:[0,0,1] op_sel_hi:[0,1,0]
	v_pk_fma_f16 v89, 0xbbb2, v98, v89 op_sel:[0,0,1] op_sel_hi:[0,1,0] neg_lo:[0,1,0] neg_hi:[0,1,0]
	s_delay_alu instid0(VALU_DEP_2) | instskip(NEXT) | instid1(VALU_DEP_2)
	v_alignbit_b32 v94, s0, v99, 16
	v_pk_add_f16 v82, v89, v82
	v_pk_fma_f16 v89, 0x3bf7, v148, v90 op_sel:[0,0,1] op_sel_hi:[0,1,0]
	v_pk_add_f16 v86, v99, v86
	v_pk_fma_f16 v90, 0x3bf7, v148, v90 op_sel:[0,0,1] op_sel_hi:[0,1,0] neg_lo:[0,1,0] neg_hi:[0,1,0]
	v_pk_add_f16 v88, v94, v88
	v_bfi_b32 v94, 0xffff, v97, v95
	v_bfi_b32 v95, 0xffff, v245, v239
	v_pk_add_f16 v86, v89, v86
	v_pk_add_f16 v82, v90, v82
	v_bfi_b32 v90, 0xffff, v247, v246
	v_pk_add_f16 v93, v94, v93
	v_alignbit_b32 v94, s0, v89, 16
	s_delay_alu instid0(VALU_DEP_4) | instskip(NEXT) | instid1(VALU_DEP_3)
	v_alignbit_b32 v86, v86, v82, 16
	v_pk_add_f16 v89, v95, v93
	s_delay_alu instid0(VALU_DEP_3)
	v_pk_add_f16 v88, v94, v88
	v_pack_b32_f16 v93, v123, v140
	v_pack_b32_f16 v94, v105, v107
	;; [unrolled: 1-line block ×3, first 2 shown]
	v_pk_add_f16 v89, v90, v89
	v_bfi_b32 v90, 0xffff, v250, v251
	v_pack_b32_f16 v82, v88, v82
	v_pack_b32_f16 v88, v143, v91
	;; [unrolled: 1-line block ×3, first 2 shown]
	s_delay_alu instid0(VALU_DEP_4) | instskip(SKIP_1) | instid1(VALU_DEP_1)
	v_pk_add_f16 v89, v90, v89
	v_bfi_b32 v90, 0xffff, v147, v149
	v_pk_add_f16 v89, v90, v89
	ds_store_2addr_b32 v144, v82, v86 offset0:8 offset1:9
	ds_store_2addr_b32 v144, v91, v88 offset0:10 offset1:11
	;; [unrolled: 1-line block ×4, first 2 shown]
	ds_store_b32 v144, v89 offset:64
	s_and_saveexec_b32 s0, vcc_lo
	s_cbranch_execz .LBB0_13
; %bb.12:
	v_add_f16_e32 v82, v73, v72
	v_sub_f16_e32 v86, v77, v85
	v_add_f16_e32 v95, v110, v73
	v_add_f16_e64 v114, v106, v224
	v_add_f16_e64 v115, v233, v222
	v_add_f16_e32 v82, v70, v82
	v_add_f16_e64 v118, v68, v221
	v_add_f16_e32 v122, v67, v41
	v_add_f16_e64 v126, v229, v42
	v_add_f16_e64 v130, v64, v223
	v_add_f16_e32 v82, v71, v82
	v_mul_f16_e64 v131, 0xb1e1, v86
	v_sub_f16_e64 v135, v222, v233
	v_add_f16_e64 v139, v63, v54
	v_sub_f16_e64 v140, v221, v68
	v_add_f16_e32 v82, v78, v82
	v_sub_f16_e64 v144, v41, v67
	v_mul_f16_e64 v137, 0x3b29, v135
	v_sub_f16_e64 v146, v42, v229
	v_mul_f16_e64 v143, 0xbbf7, v140
	v_add_f16_e32 v82, v79, v82
	v_mul_f16_e64 v145, 0x3a62, v144
	v_add_f16_e64 v149, v227, v53
	v_mul_f16_e64 v147, 0xb5c8, v146
	v_sub_f16_e64 v150, v223, v64
	v_add_f16_e32 v88, v77, v82
	v_add_f16_e32 v82, v85, v77
	;; [unrolled: 1-line block ×3, first 2 shown]
	v_sub_f16_e64 v236, v54, v63
	v_mul_f16_e64 v151, 0xb1e1, v150
	v_add_f16_e32 v89, v83, v88
	v_sub_f16_e32 v88, v83, v84
	s_clause 0x1
	scratch_store_b32 off, v141, off offset:112
	scratch_store_b32 off, v156, off offset:116
	v_mul_f16_e64 v237, 0x3964, v236
	v_add_f16_e32 v83, v74, v89
	v_mov_b32_e32 v141, v152
	v_mul_f16_e64 v152, 0xbbdd, v115
	s_clause 0x2
	scratch_store_b32 off, v153, off offset:120
	scratch_store_b32 off, v154, off offset:124
	;; [unrolled: 1-line block ×3, first 2 shown]
	v_add_f16_e32 v83, v75, v83
	s_clause 0x2
	scratch_store_b32 off, v155, off offset:140
	scratch_store_b32 off, v160, off offset:136
	scratch_store_b32 off, v162, off offset:132
	v_mov_b32_e32 v199, v205
	v_add_f16_e32 v83, v84, v83
	v_dual_mov_b32 v205, v165 :: v_dual_mov_b32 v226, v171
	v_dual_mov_b32 v211, v166 :: v_dual_mov_b32 v228, v172
	s_delay_alu instid0(VALU_DEP_3)
	v_add_f16_e32 v84, v85, v83
	v_sub_f16_e64 v85, v224, v106
	v_sub_f16_e32 v83, v79, v81
	v_add_f16_e32 v79, v81, v79
	v_dual_mov_b32 v225, v170 :: v_dual_mov_b32 v230, v173
	v_add_f16_e32 v84, v81, v84
	v_mul_f16_e32 v89, 0xb836, v85
	v_mul_f16_e32 v92, 0xbbf7, v85
	v_sub_f16_e32 v81, v78, v87
	v_add_f16_e32 v78, v87, v78
	v_add_f16_e32 v87, v87, v84
	v_mul_f16_e32 v93, 0xbb29, v85
	v_fma_f16 v97, v95, 0xbacd, -v89
	v_fmac_f16_e32 v89, 0xbacd, v95
	v_fmamk_f16 v100, v95, 0x2de8, v92
	v_fma_f16 v92, v95, 0x2de8, -v92
	v_mul_f16_e32 v94, 0xb964, v85
	v_fmamk_f16 v101, v95, 0x3722, v93
	v_fma_f16 v93, v95, 0x3722, -v93
	v_add_f16_e32 v105, v72, v89
	v_add_f16_e32 v20, v72, v92
	;; [unrolled: 1-line block ×3, first 2 shown]
	v_mul_f16_e32 v84, 0xb1e1, v85
	v_mul_f16_e32 v90, 0xba62, v85
	;; [unrolled: 1-line block ×4, first 2 shown]
	v_fmamk_f16 v102, v95, 0x39e9, v94
	v_fma_f16 v94, v95, 0x39e9, -v94
	scratch_store_b32 off, v20, off offset:188 ; 4-byte Folded Spill
	v_add_f16_e32 v20, v72, v93
	v_add_f16_e32 v111, v69, v89
	v_sub_f16_e32 v89, v73, v110
	v_fmamk_f16 v103, v95, 0x3b76, v85
	v_fma_f16 v85, v95, 0x3b76, -v85
	scratch_store_b32 off, v20, off offset:176 ; 4-byte Folded Spill
	v_add_f16_e32 v20, v72, v94
	v_sub_f16_e32 v87, v70, v69
	v_mul_f16_e32 v93, 0xb836, v89
	v_mul_f16_e32 v123, 0x3a62, v81
	;; [unrolled: 1-line block ×3, first 2 shown]
	scratch_store_b32 off, v20, off offset:168 ; 4-byte Folded Spill
	v_add_f16_e32 v20, v72, v85
	v_sub_f16_e32 v85, v71, v76
	v_add_f16_e32 v71, v76, v71
	v_add_f16_e32 v76, v69, v70
	v_fmamk_f16 v69, v114, 0xbacd, v93
	v_mul_f16_e32 v94, 0x3b29, v87
	v_mul_f16_e32 v119, 0xbbf7, v85
	v_fma_f16 v96, v95, 0xbbdd, -v84
	v_fmac_f16_e32 v84, 0xbbdd, v95
	v_add_f16_e64 v69, v220, v69
	v_fmamk_f16 v70, v115, 0x3722, v94
	v_fmamk_f16 v98, v95, 0xb8d2, v90
	v_fma_f16 v90, v95, 0xb8d2, -v90
	v_fmamk_f16 v99, v95, 0xb461, v91
	v_fma_f16 v91, v95, 0xb461, -v91
	v_add_f16_e32 v69, v70, v69
	v_fmamk_f16 v70, v118, 0x2de8, v119
	v_add_f16_e32 v95, v72, v97
	v_add_f16_e32 v107, v72, v90
	v_sub_f16_e32 v90, v74, v75
	v_mul_f16_e64 v238, 0x35c8, v87
	v_add_f16_e32 v69, v70, v69
	v_fmamk_f16 v70, v122, 0xb8d2, v123
	s_clause 0x3
	scratch_store_b32 off, v20, off offset:164
	scratch_store_b32 off, v157, off offset:156
	;; [unrolled: 1-line block ×4, first 2 shown]
	v_add_f16_e32 v69, v70, v69
	v_fmamk_f16 v70, v126, 0x3b76, v127
	v_mul_f16_e64 v148, 0xbbb2, v90
	v_fma_f16 v239, 0x3b76, v115, v238
	v_add_f16_e32 v96, v72, v96
	v_fma_f16 v238, v115, 0x3b76, -v238
	v_add_f16_e32 v69, v70, v69
	v_fma_f16 v70, 0xbbdd, v130, v131
	v_add_f16_e32 v97, v72, v84
	v_fma_f16 v93, v114, 0xbacd, -v93
	v_fma_f16 v94, v115, 0x3722, -v94
	v_add_f16_e32 v98, v72, v98
	v_add_f16_e32 v69, v70, v69
	v_fma_f16 v70, v76, 0x3722, -v137
	v_add_f16_e64 v93, v220, v93
	v_fmac_f16_e64 v137, 0x3722, v76
	v_add_f16_e32 v99, v72, v99
	v_fma_f16 v153, 0x31e1, v87, v152
	v_add_f16_e32 v70, v70, v95
	v_mul_f16_e32 v95, 0x3964, v88
	v_add_f16_e32 v93, v94, v93
	v_add_f16_e32 v100, v72, v100
	v_mov_b32_e32 v231, v174
	v_add_f16_e32 v109, v72, v91
	v_fma_f16 v73, 0x39e9, v139, v95
	v_fma_f16 v95, v139, 0x39e9, -v95
	v_mov_b32_e32 v91, v177
	v_add_f16_e32 v101, v72, v101
	v_mov_b32_e32 v92, v198
	v_add_f16_e32 v69, v73, v69
	v_fma_f16 v73, v71, 0x2de8, -v143
	v_fmac_f16_e64 v143, 0x2de8, v71
	v_mov_b32_e32 v198, v106
	v_mul_f16_e32 v106, 0x2de8, v115
	v_add_f16_e32 v102, v72, v102
	v_add_f16_e32 v70, v73, v70
	v_fma_f16 v73, v78, 0xb8d2, -v145
	v_fmac_f16_e64 v145, 0xb8d2, v78
	v_add_f16_e32 v103, v72, v103
	v_mov_b32_e32 v72, v208
	v_mov_b32_e32 v208, v104
	v_add_f16_e32 v70, v73, v70
	v_fma_f16 v73, v79, 0x3b76, -v147
	v_fmac_f16_e64 v147, 0x3b76, v79
	v_mov_b32_e32 v104, v189
	v_mov_b32_e32 v80, v190
	;; [unrolled: 1-line block ×3, first 2 shown]
	v_add_f16_e32 v70, v73, v70
	v_fma_f16 v73, 0xb461, v149, v148
	v_mov_b32_e32 v217, v112
	v_fmac_f16_e64 v152, 0xb1e1, v87
	v_mov_b32_e32 v232, v175
	v_mov_b32_e32 v234, v176
	v_add_f16_e64 v218, v73, v69
	v_fma_f16 v73, v82, 0xbbdd, -v151
	v_fmac_f16_e64 v151, 0xbbdd, v82
	v_mov_b32_e32 v84, v197
	s_delay_alu instid0(VALU_DEP_3) | instskip(SKIP_4) | instid1(VALU_DEP_3)
	v_add_f16_e32 v70, v73, v70
	v_add_f16_e32 v73, v75, v74
	v_fma_f16 v74, v77, 0x39e9, -v237
	v_mul_f16_e32 v75, 0xb1e1, v89
	v_fmac_f16_e64 v237, 0x39e9, v77
	v_add_f16_e32 v70, v74, v70
	s_delay_alu instid0(VALU_DEP_3) | instskip(SKIP_1) | instid1(VALU_DEP_2)
	v_fmamk_f16 v74, v114, 0xbbdd, v75
	v_fma_f16 v75, v114, 0xbbdd, -v75
	v_add_f16_e64 v74, v220, v74
	s_delay_alu instid0(VALU_DEP_2) | instskip(NEXT) | instid1(VALU_DEP_2)
	v_add_f16_e64 v75, v220, v75
	v_add_f16_e64 v74, v239, v74
	v_sub_f16_e64 v239, v53, v227
	s_delay_alu instid0(VALU_DEP_3) | instskip(NEXT) | instid1(VALU_DEP_2)
	v_add_f16_e64 v75, v238, v75
	v_mul_f16_e64 v240, 0xbbb2, v239
	s_delay_alu instid0(VALU_DEP_1) | instskip(SKIP_1) | instid1(VALU_DEP_2)
	v_fma_f16 v241, v73, 0xb461, -v240
	v_fmac_f16_e64 v240, 0xb461, v73
	v_add_f16_e64 v20, v241, v70
	v_mul_f16_e64 v241, 0xb836, v85
	v_dual_mov_b32 v70, v52 :: v_dual_mov_b32 v69, v51
	v_mov_b32_e32 v51, v183
	scratch_store_b32 off, v20, off offset:172 ; 4-byte Folded Spill
	v_fma_f16 v242, 0xbacd, v118, v241
	v_fma_f16 v238, v118, 0xbacd, -v241
	v_mov_b32_e32 v52, v184
	s_delay_alu instid0(VALU_DEP_3) | instskip(SKIP_1) | instid1(VALU_DEP_4)
	v_add_f16_e64 v74, v242, v74
	v_mul_f16_e64 v242, 0x3964, v81
	v_add_f16_e64 v75, v238, v75
	v_mul_f16_e64 v238, 0xbbb2, v236
	s_delay_alu instid0(VALU_DEP_3) | instskip(NEXT) | instid1(VALU_DEP_2)
	v_fma_f16 v243, 0x39e9, v122, v242
	v_fma_f16 v241, v77, 0xb461, -v238
	v_fmac_f16_e64 v238, 0xb461, v77
	s_delay_alu instid0(VALU_DEP_3) | instskip(SKIP_1) | instid1(VALU_DEP_1)
	v_add_f16_e64 v74, v243, v74
	v_mul_f16_e64 v243, 0x35c8, v135
	v_fma_f16 v244, v76, 0x3b76, -v243
	v_fmac_f16_e64 v243, 0x3b76, v76
	s_delay_alu instid0(VALU_DEP_2) | instskip(SKIP_1) | instid1(VALU_DEP_3)
	v_add_f16_e64 v96, v244, v96
	v_mul_f16_e64 v244, 0xba62, v83
	v_add_f16_e64 v97, v243, v97
	s_delay_alu instid0(VALU_DEP_2) | instskip(NEXT) | instid1(VALU_DEP_1)
	v_fma_f16 v245, 0xb8d2, v126, v244
	v_add_f16_e64 v74, v245, v74
	v_mul_f16_e64 v245, 0xb836, v140
	s_delay_alu instid0(VALU_DEP_1) | instskip(SKIP_1) | instid1(VALU_DEP_2)
	v_fma_f16 v246, v71, 0xbacd, -v245
	v_fmac_f16_e64 v245, 0xbacd, v71
	v_add_f16_e64 v96, v246, v96
	v_mul_f16_e64 v246, 0x3b29, v86
	s_delay_alu instid0(VALU_DEP_1) | instskip(NEXT) | instid1(VALU_DEP_1)
	v_fma_f16 v247, 0x3722, v130, v246
	v_add_f16_e64 v74, v247, v74
	v_mul_f16_e64 v247, 0x3964, v144
	s_delay_alu instid0(VALU_DEP_1) | instskip(SKIP_1) | instid1(VALU_DEP_2)
	v_fma_f16 v248, v78, 0x39e9, -v247
	v_fmac_f16_e64 v247, 0x39e9, v78
	v_add_f16_e64 v96, v248, v96
	v_mul_f16_e64 v248, 0xbbb2, v88
	s_delay_alu instid0(VALU_DEP_1) | instskip(NEXT) | instid1(VALU_DEP_1)
	;; [unrolled: 9-line block ×3, first 2 shown]
	v_fma_f16 v251, 0x2de8, v149, v250
	v_add_f16_e64 v20, v251, v74
	v_mul_f16_e64 v251, 0x3b29, v150
	scratch_store_b32 off, v20, off offset:180 ; 4-byte Folded Spill
	v_fma_f16 v252, v82, 0x3722, -v251
	v_fmac_f16_e64 v251, 0x3722, v82
	s_delay_alu instid0(VALU_DEP_2) | instskip(NEXT) | instid1(VALU_DEP_1)
	v_add_f16_e64 v96, v252, v96
	v_add_f16_e64 v96, v241, v96
	v_fma_f16 v241, v122, 0x39e9, -v242
	v_mul_f16_e64 v242, 0x3bf7, v239
	s_delay_alu instid0(VALU_DEP_2) | instskip(NEXT) | instid1(VALU_DEP_2)
	v_add_f16_e64 v241, v241, v75
	v_fma_f16 v75, v73, 0x2de8, -v242
	v_fmac_f16_e64 v242, 0x2de8, v73
	s_delay_alu instid0(VALU_DEP_2)
	v_add_f16_e32 v20, v75, v96
	v_add_f16_e64 v96, v245, v97
	v_fma_f16 v97, v126, 0xb8d2, -v244
	v_dual_mov_b32 v74, v187 :: v_dual_mov_b32 v75, v188
	scratch_store_b32 off, v20, off offset:184 ; 4-byte Folded Spill
	v_add_f16_e64 v96, v247, v96
	v_add_f16_e64 v97, v97, v241
	v_fma_f16 v241, v130, 0x3722, -v246
	s_delay_alu instid0(VALU_DEP_3) | instskip(SKIP_1) | instid1(VALU_DEP_3)
	v_add_f16_e64 v94, v249, v96
	v_fma_f16 v96, v139, 0xb461, -v248
	v_add_f16_e64 v97, v241, v97
	s_delay_alu instid0(VALU_DEP_3) | instskip(NEXT) | instid1(VALU_DEP_2)
	v_add_f16_e64 v94, v251, v94
	v_add_f16_e32 v96, v96, v97
	v_fma_f16 v97, v118, 0x2de8, -v119
	v_mul_f16_e32 v119, 0xb461, v115
	s_delay_alu instid0(VALU_DEP_4) | instskip(NEXT) | instid1(VALU_DEP_3)
	v_add_f16_e64 v94, v238, v94
	v_add_f16_e32 v97, v97, v93
	v_fma_f16 v93, v149, 0x2de8, -v250
	s_delay_alu instid0(VALU_DEP_1)
	v_add_f16_e32 v20, v93, v96
	v_fma_f16 v96, v122, 0xb8d2, -v123
	v_fmamk_f16 v123, v87, 0xbbb2, v119
	v_mov_b32_e32 v93, v210
	v_fmac_f16_e32 v119, 0x3bb2, v87
	scratch_store_b32 off, v20, off offset:192 ; 4-byte Folded Spill
	v_add_f16_e32 v96, v96, v97
	v_fma_f16 v97, v126, 0x3b76, -v127
	v_add_f16_e64 v20, v242, v94
	v_dual_mov_b32 v94, v215 :: v_dual_mov_b32 v215, v110
	s_delay_alu instid0(VALU_DEP_3)
	v_add_f16_e32 v96, v97, v96
	v_add_f16_e64 v97, v137, v105
	v_fma_f16 v105, v130, 0xbbdd, -v131
	scratch_store_b32 off, v20, off offset:196 ; 4-byte Folded Spill
	v_add_f16_e64 v111, v215, v111
	v_mov_b32_e32 v215, v94
	v_add_f16_e64 v97, v143, v97
	v_add_f16_e32 v96, v105, v96
	s_delay_alu instid0(VALU_DEP_1) | instskip(NEXT) | instid1(VALU_DEP_3)
	v_add_f16_e32 v95, v95, v96
	v_add_f16_e64 v96, v145, v97
	v_mul_f16_e32 v97, 0xb8d2, v114
	s_delay_alu instid0(VALU_DEP_2) | instskip(NEXT) | instid1(VALU_DEP_2)
	v_add_f16_e64 v96, v147, v96
	v_fmamk_f16 v105, v89, 0x3a62, v97
	v_fmac_f16_e32 v97, 0xba62, v89
	s_delay_alu instid0(VALU_DEP_3) | instskip(NEXT) | instid1(VALU_DEP_3)
	v_add_f16_e64 v96, v151, v96
	v_add_f16_e64 v105, v220, v105
	s_delay_alu instid0(VALU_DEP_3) | instskip(NEXT) | instid1(VALU_DEP_3)
	v_add_f16_e64 v97, v220, v97
	v_add_f16_e64 v96, v237, v96
	s_delay_alu instid0(VALU_DEP_3) | instskip(SKIP_1) | instid1(VALU_DEP_4)
	v_add_f16_e32 v105, v123, v105
	v_fma_f16 v123, v149, 0xb461, -v148
	v_add_f16_e32 v97, v119, v97
	v_mul_f16_e64 v119, 0xb836, v236
	s_delay_alu instid0(VALU_DEP_3)
	v_add_f16_e32 v20, v123, v95
	v_mov_b32_e32 v95, v41
	v_mul_f16_e32 v123, 0x3b76, v118
	v_mov_b32_e32 v41, v193
	scratch_store_b32 off, v20, off offset:200 ; 4-byte Folded Spill
	v_add_f16_e64 v20, v240, v96
	v_fmamk_f16 v127, v85, 0x35c8, v123
	v_mul_f16_e64 v240, 0xbacd, v115
	v_mov_b32_e32 v96, v180
	v_fmac_f16_e32 v123, 0xb5c8, v85
	scratch_store_b32 off, v20, off offset:204 ; 4-byte Folded Spill
	v_add_f16_e32 v105, v127, v105
	v_mul_f16_e32 v127, 0xbacd, v122
	v_fma_f16 v241, 0xb836, v87, v240
	v_add_f16_e32 v97, v123, v97
	v_fmac_f16_e64 v240, 0x3836, v87
	v_mul_f16_e64 v123, 0xb1e1, v239
	v_fma_f16 v131, 0x3836, v81, v127
	v_fmac_f16_e32 v127, 0xb836, v81
	s_delay_alu instid0(VALU_DEP_2) | instskip(SKIP_1) | instid1(VALU_DEP_3)
	v_add_f16_e64 v105, v131, v105
	v_mul_f16_e64 v131, 0x2de8, v126
	v_add_f16_e32 v97, v127, v97
	s_delay_alu instid0(VALU_DEP_2) | instskip(SKIP_1) | instid1(VALU_DEP_2)
	v_fma_f16 v137, 0xbbf7, v83, v131
	v_fmac_f16_e64 v131, 0x3bf7, v83
	v_add_f16_e64 v105, v137, v105
	v_mul_f16_e64 v137, 0x39e9, v130
	s_delay_alu instid0(VALU_DEP_3) | instskip(NEXT) | instid1(VALU_DEP_2)
	v_add_f16_e64 v97, v131, v97
	v_fma_f16 v143, 0x3964, v86, v137
	v_fmac_f16_e64 v137, 0xb964, v86
	s_delay_alu instid0(VALU_DEP_2) | instskip(SKIP_1) | instid1(VALU_DEP_3)
	v_add_f16_e64 v105, v143, v105
	v_mul_f16_e64 v143, 0x3bb2, v135
	v_add_f16_e64 v97, v137, v97
	s_delay_alu instid0(VALU_DEP_2) | instskip(SKIP_1) | instid1(VALU_DEP_2)
	v_fma_f16 v145, 0xb461, v76, v143
	v_fma_f16 v131, v76, 0xb461, -v143
	v_add_f16_e64 v98, v145, v98
	v_mul_f16_e64 v145, 0xbbdd, v139
	s_delay_alu instid0(VALU_DEP_3) | instskip(NEXT) | instid1(VALU_DEP_2)
	v_add_f16_e64 v107, v131, v107
	v_fma_f16 v147, 0x31e1, v88, v145
	v_fmac_f16_e64 v145, 0xb1e1, v88
	s_delay_alu instid0(VALU_DEP_2) | instskip(SKIP_1) | instid1(VALU_DEP_3)
	v_add_f16_e64 v105, v147, v105
	v_mul_f16_e64 v147, 0xb5c8, v140
	v_add_f16_e64 v97, v145, v97
	s_delay_alu instid0(VALU_DEP_2) | instskip(SKIP_1) | instid1(VALU_DEP_2)
	v_fma_f16 v148, 0x3b76, v71, v147
	v_fma_f16 v131, v71, 0x3b76, -v147
	v_add_f16_e64 v98, v148, v98
	v_mul_f16_e64 v148, 0xb836, v144
	s_delay_alu instid0(VALU_DEP_3) | instskip(NEXT) | instid1(VALU_DEP_2)
	v_add_f16_e64 v107, v131, v107
	v_fma_f16 v151, 0xbacd, v78, v148
	v_fma_f16 v131, v78, 0xbacd, -v148
	s_delay_alu instid0(VALU_DEP_2) | instskip(SKIP_1) | instid1(VALU_DEP_3)
	v_add_f16_e64 v98, v151, v98
	v_mul_f16_e64 v151, 0x3bf7, v146
	v_add_f16_e64 v107, v131, v107
	s_delay_alu instid0(VALU_DEP_2) | instskip(SKIP_1) | instid1(VALU_DEP_2)
	v_fma_f16 v237, 0x2de8, v79, v151
	v_fma_f16 v137, v79, 0x2de8, -v151
	v_add_f16_e64 v98, v237, v98
	v_mul_f16_e64 v237, 0xb461, v114
	s_delay_alu instid0(VALU_DEP_3) | instskip(NEXT) | instid1(VALU_DEP_2)
	v_add_f16_e64 v107, v137, v107
	v_fma_f16 v238, 0x3bb2, v89, v237
	v_fmac_f16_e64 v237, 0xbbb2, v89
	s_delay_alu instid0(VALU_DEP_2) | instskip(NEXT) | instid1(VALU_DEP_2)
	v_add_f16_e64 v238, v220, v238
	v_add_f16_e64 v131, v220, v237
	s_delay_alu instid0(VALU_DEP_2) | instskip(SKIP_1) | instid1(VALU_DEP_3)
	v_add_f16_e64 v238, v241, v238
	v_mul_f16_e64 v241, 0xb964, v150
	v_add_f16_e64 v131, v240, v131
	s_delay_alu instid0(VALU_DEP_2) | instskip(SKIP_1) | instid1(VALU_DEP_2)
	v_fma_f16 v242, 0x39e9, v82, v241
	v_fma_f16 v137, v82, 0x39e9, -v241
	v_add_f16_e64 v98, v242, v98
	v_mul_f16_e64 v242, 0x39e9, v118
	s_delay_alu instid0(VALU_DEP_3) | instskip(NEXT) | instid1(VALU_DEP_2)
	v_add_f16_e64 v107, v137, v107
	v_fma_f16 v243, 0xb964, v85, v242
	v_fmac_f16_e64 v242, 0x3964, v85
	s_delay_alu instid0(VALU_DEP_2) | instskip(SKIP_1) | instid1(VALU_DEP_3)
	v_add_f16_e64 v238, v243, v238
	v_mul_f16_e64 v243, 0x3722, v149
	v_add_f16_e64 v131, v242, v131
	s_delay_alu instid0(VALU_DEP_2) | instskip(SKIP_1) | instid1(VALU_DEP_2)
	v_fma_f16 v244, 0xbb29, v90, v243
	v_fmac_f16_e64 v243, 0x3b29, v90
	v_add_f16_e64 v20, v244, v105
	v_mul_f16_e64 v244, 0xb1e1, v236
	v_mov_b32_e32 v105, v209
	v_mov_b32_e32 v209, v169
	v_mul_f16_e64 v169, 0xb8d2, v115
	scratch_store_b32 off, v20, off offset:208 ; 4-byte Folded Spill
	v_fma_f16 v245, 0xbbdd, v77, v244
	v_mov_b32_e32 v210, v142
	v_add_f16_e64 v97, v243, v97
	v_fma_f16 v170, 0x3a62, v87, v169
	v_fmac_f16_e64 v169, 0xba62, v87
	v_add_f16_e64 v98, v245, v98
	v_mul_f16_e64 v245, 0x3722, v122
	s_delay_alu instid0(VALU_DEP_1) | instskip(SKIP_1) | instid1(VALU_DEP_2)
	v_fma_f16 v246, 0x3b29, v81, v245
	v_fmac_f16_e64 v245, 0xbb29, v81
	v_add_f16_e64 v238, v246, v238
	v_mul_f16_e64 v246, 0xbbdd, v126
	s_delay_alu instid0(VALU_DEP_3) | instskip(NEXT) | instid1(VALU_DEP_2)
	v_add_f16_e64 v131, v245, v131
	v_fma_f16 v247, 0x31e1, v83, v246
	v_fmac_f16_e64 v246, 0xb1e1, v83
	s_delay_alu instid0(VALU_DEP_2) | instskip(SKIP_1) | instid1(VALU_DEP_3)
	v_add_f16_e64 v238, v247, v238
	v_mul_f16_e64 v247, 0x2de8, v130
	v_add_f16_e64 v131, v246, v131
	s_delay_alu instid0(VALU_DEP_2) | instskip(SKIP_1) | instid1(VALU_DEP_2)
	v_fma_f16 v248, 0xbbf7, v86, v247
	v_fmac_f16_e64 v247, 0x3bf7, v86
	v_add_f16_e64 v238, v248, v238
	v_mul_f16_e64 v248, 0x3836, v135
	s_delay_alu instid0(VALU_DEP_3) | instskip(NEXT) | instid1(VALU_DEP_2)
	v_add_f16_e64 v131, v247, v131
	v_fma_f16 v249, 0xbacd, v76, v248
	v_fma_f16 v137, v76, 0xbacd, -v248
	s_delay_alu instid0(VALU_DEP_2) | instskip(SKIP_1) | instid1(VALU_DEP_3)
	v_add_f16_e64 v99, v249, v99
	v_mul_f16_e64 v249, 0x3b29, v239
	v_add_f16_e64 v109, v137, v109
	v_fma_f16 v137, v77, 0xbbdd, -v244
	s_delay_alu instid0(VALU_DEP_3) | instskip(NEXT) | instid1(VALU_DEP_2)
	v_fma_f16 v250, 0x3722, v73, v249
	v_add_f16_e64 v107, v137, v107
	s_delay_alu instid0(VALU_DEP_2)
	v_add_f16_e64 v20, v250, v98
	v_mul_f16_e64 v250, 0x3b76, v139
	v_mov_b32_e32 v98, v185
	v_fma_f16 v185, 0x3bf7, v87, v106
	v_fmac_f16_e32 v106, 0xbbf7, v87
	scratch_store_b32 off, v20, off offset:212 ; 4-byte Folded Spill
	v_fma_f16 v251, 0x35c8, v88, v250
	v_fmac_f16_e64 v250, 0xb5c8, v88
	s_delay_alu instid0(VALU_DEP_2) | instskip(SKIP_1) | instid1(VALU_DEP_3)
	v_add_f16_e64 v238, v251, v238
	v_mul_f16_e64 v251, 0x3964, v140
	v_add_f16_e64 v131, v250, v131
	s_delay_alu instid0(VALU_DEP_2) | instskip(SKIP_1) | instid1(VALU_DEP_2)
	v_fma_f16 v252, 0x39e9, v71, v251
	v_fma_f16 v137, v71, 0x39e9, -v251
	v_add_f16_e64 v99, v252, v99
	v_mul_f16_e64 v252, 0xbb29, v144
	s_delay_alu instid0(VALU_DEP_3) | instskip(NEXT) | instid1(VALU_DEP_2)
	v_add_f16_e64 v109, v137, v109
	v_fma_f16 v253, 0x3722, v78, v252
	v_fma_f16 v137, v78, 0x3722, -v252
	s_delay_alu instid0(VALU_DEP_2) | instskip(SKIP_1) | instid1(VALU_DEP_3)
	v_add_f16_e64 v99, v253, v99
	v_mul_f16_e64 v253, 0xb1e1, v146
	v_add_f16_e64 v109, v137, v109
	v_fma_f16 v137, v73, 0x3722, -v249
	s_delay_alu instid0(VALU_DEP_3) | instskip(NEXT) | instid1(VALU_DEP_2)
	v_fma_f16 v254, 0xbbdd, v79, v253
	v_add_f16_e64 v107, v137, v107
	v_fma_f16 v137, v79, 0xbbdd, -v253
	s_delay_alu instid0(VALU_DEP_3) | instskip(SKIP_1) | instid1(VALU_DEP_3)
	v_add_f16_e64 v99, v254, v99
	v_mul_f16_e64 v254, 0x2de8, v114
	v_add_f16_e64 v109, v137, v109
	s_delay_alu instid0(VALU_DEP_2) | instskip(SKIP_1) | instid1(VALU_DEP_2)
	v_fma_f16 v255, 0x3bf7, v89, v254
	v_fmac_f16_e64 v254, 0xbbf7, v89
	v_add_f16_e64 v255, v220, v255
	s_delay_alu instid0(VALU_DEP_2) | instskip(NEXT) | instid1(VALU_DEP_2)
	v_add_f16_e64 v137, v220, v254
	v_add_f16_e64 v153, v153, v255
	v_mul_f16_e64 v255, 0x3bf7, v150
	s_delay_alu instid0(VALU_DEP_3) | instskip(NEXT) | instid1(VALU_DEP_2)
	v_add_f16_e64 v137, v152, v137
	v_fma_f16 v154, 0x2de8, v82, v255
	s_delay_alu instid0(VALU_DEP_1) | instskip(SKIP_1) | instid1(VALU_DEP_1)
	v_add_f16_e64 v99, v154, v99
	v_mul_f16_e64 v154, 0xb461, v118
	v_fma_f16 v155, 0xbbb2, v85, v154
	v_fmac_f16_e64 v154, 0x3bb2, v85
	s_delay_alu instid0(VALU_DEP_2) | instskip(SKIP_1) | instid1(VALU_DEP_3)
	v_add_f16_e64 v153, v155, v153
	v_mul_f16_e64 v155, 0xb8d2, v149
	v_add_f16_e64 v137, v154, v137
	s_delay_alu instid0(VALU_DEP_2) | instskip(SKIP_1) | instid1(VALU_DEP_2)
	v_fma_f16 v156, 0x3a62, v90, v155
	v_fmac_f16_e64 v155, 0xba62, v90
	v_add_f16_e64 v20, v156, v238
	v_mul_f16_e64 v238, 0xb5c8, v236
	v_mov_b32_e32 v156, v167
	s_delay_alu instid0(VALU_DEP_4) | instskip(SKIP_2) | instid1(VALU_DEP_1)
	v_add_f16_e64 v131, v155, v131
	scratch_store_b32 off, v20, off offset:216 ; 4-byte Folded Spill
	v_fma_f16 v157, 0x3b76, v77, v238
	v_add_f16_e64 v99, v157, v99
	v_mul_f16_e64 v157, 0x3b76, v122
	s_delay_alu instid0(VALU_DEP_1) | instskip(SKIP_1) | instid1(VALU_DEP_2)
	v_fma_f16 v159, 0xb5c8, v81, v157
	v_fmac_f16_e64 v157, 0x35c8, v81
	v_add_f16_e64 v153, v159, v153
	v_mul_f16_e64 v159, 0x3722, v126
	s_delay_alu instid0(VALU_DEP_3) | instskip(NEXT) | instid1(VALU_DEP_2)
	v_add_f16_e64 v137, v157, v137
	v_fma_f16 v160, 0x3b29, v83, v159
	v_fmac_f16_e64 v159, 0xbb29, v83
	s_delay_alu instid0(VALU_DEP_2) | instskip(SKIP_1) | instid1(VALU_DEP_3)
	v_add_f16_e64 v153, v160, v153
	v_mul_f16_e64 v160, 0xbacd, v130
	v_add_f16_e64 v137, v159, v137
	s_delay_alu instid0(VALU_DEP_2) | instskip(SKIP_1) | instid1(VALU_DEP_2)
	v_fma_f16 v161, 0x3836, v86, v160
	v_fmac_f16_e64 v160, 0xb836, v86
	v_add_f16_e64 v153, v161, v153
	v_mul_f16_e64 v161, 0xb1e1, v135
	s_delay_alu instid0(VALU_DEP_3) | instskip(NEXT) | instid1(VALU_DEP_2)
	v_add_f16_e64 v137, v160, v137
	v_fma_f16 v162, 0xbbdd, v76, v161
	s_delay_alu instid0(VALU_DEP_1) | instskip(SKIP_1) | instid1(VALU_DEP_1)
	v_add_f16_e64 v100, v162, v100
	v_mul_f16_e64 v162, 0xba62, v239
	v_fma_f16 v163, 0xb8d2, v73, v162
	s_delay_alu instid0(VALU_DEP_1)
	v_add_f16_e64 v20, v163, v99
	v_mul_f16_e64 v163, 0xb8d2, v139
	v_mov_b32_e32 v99, v186
	scratch_store_b32 off, v20, off offset:220 ; 4-byte Folded Spill
	v_fma_f16 v164, 0xba62, v88, v163
	v_fmac_f16_e64 v163, 0x3a62, v88
	s_delay_alu instid0(VALU_DEP_2) | instskip(SKIP_1) | instid1(VALU_DEP_3)
	v_add_f16_e64 v153, v164, v153
	v_mul_f16_e64 v164, 0x3bb2, v140
	v_add_f16_e64 v137, v163, v137
	s_delay_alu instid0(VALU_DEP_2) | instskip(NEXT) | instid1(VALU_DEP_1)
	v_fma_f16 v165, 0xb461, v71, v164
	v_add_f16_e64 v100, v165, v100
	v_mul_f16_e64 v165, 0x35c8, v144
	s_delay_alu instid0(VALU_DEP_1) | instskip(NEXT) | instid1(VALU_DEP_1)
	v_fma_f16 v166, 0x3b76, v78, v165
	v_add_f16_e64 v100, v166, v100
	v_mul_f16_e64 v166, 0xbb29, v146
	s_delay_alu instid0(VALU_DEP_1) | instskip(SKIP_2) | instid1(VALU_DEP_3)
	v_fma_f16 v167, 0x3722, v79, v166
	v_fma_f16 v143, v79, 0x3722, -v166
	v_mov_b32_e32 v166, v211
	v_add_f16_e64 v100, v167, v100
	v_mul_f16_e64 v167, 0x3722, v114
	s_delay_alu instid0(VALU_DEP_1) | instskip(SKIP_1) | instid1(VALU_DEP_2)
	v_fma_f16 v168, 0x3b29, v89, v167
	v_fmac_f16_e64 v167, 0xbb29, v89
	v_add_f16_e64 v168, v220, v168
	s_delay_alu instid0(VALU_DEP_1) | instskip(SKIP_1) | instid1(VALU_DEP_1)
	v_add_f16_e64 v168, v170, v168
	v_mul_f16_e64 v170, 0xb836, v150
	v_fma_f16 v171, 0xbacd, v82, v170
	s_delay_alu instid0(VALU_DEP_1) | instskip(SKIP_1) | instid1(VALU_DEP_1)
	v_add_f16_e64 v100, v171, v100
	v_mul_f16_e64 v171, 0xbbdd, v118
	v_fma_f16 v172, 0xb1e1, v85, v171
	v_fmac_f16_e64 v171, 0x31e1, v85
	s_delay_alu instid0(VALU_DEP_2) | instskip(SKIP_1) | instid1(VALU_DEP_1)
	v_add_f16_e64 v168, v172, v168
	v_mul_f16_e64 v172, 0x39e9, v149
	v_fma_f16 v173, 0xb964, v90, v172
	v_fmac_f16_e64 v172, 0x3964, v90
	s_delay_alu instid0(VALU_DEP_2) | instskip(SKIP_2) | instid1(VALU_DEP_4)
	v_add_f16_e64 v20, v173, v153
	v_mul_f16_e64 v173, 0x3a62, v236
	v_mov_b32_e32 v153, v179
	v_add_f16_e64 v137, v172, v137
	v_mov_b32_e32 v172, v228
	scratch_store_b32 off, v20, off offset:224 ; 4-byte Folded Spill
	v_fma_f16 v174, 0xb8d2, v77, v173
	s_clause 0x1
	scratch_store_b32 off, v181, off offset:152
	scratch_store_b32 off, v212, off offset:160
	v_mov_b32_e32 v212, v178
	scratch_store_b32 off, v108, off offset:232 ; 4-byte Folded Spill
	v_mov_b32_e32 v152, v141
	v_add_f16_e64 v100, v174, v100
	v_mul_f16_e64 v174, 0xb461, v122
	v_fma_f16 v141, v82, 0x2de8, -v255
	s_clause 0x3
	scratch_load_b32 v157, off, off offset:156
	scratch_load_b32 v154, off, off offset:124
	;; [unrolled: 1-line block ×4, first 2 shown]
	v_fma_f16 v175, 0xbbb2, v81, v174
	v_add_f16_e64 v109, v141, v109
	v_fma_f16 v141, v77, 0x3b76, -v238
	scratch_load_b32 v160, off, off offset:136 ; 4-byte Folded Reload
	v_fmac_f16_e64 v174, 0x3bb2, v81
	v_add_f16_e64 v168, v175, v168
	v_mul_f16_e64 v175, 0x39e9, v126
	v_add_f16_e64 v109, v141, v109
	v_fma_f16 v141, v76, 0xbbdd, -v161
	s_delay_alu instid0(VALU_DEP_3) | instskip(SKIP_1) | instid1(VALU_DEP_2)
	v_fma_f16 v176, 0xb964, v83, v175
	v_fmac_f16_e64 v175, 0x3964, v83
	v_add_f16_e64 v168, v176, v168
	v_mul_f16_e64 v176, 0x3b76, v130
	s_delay_alu instid0(VALU_DEP_1) | instskip(SKIP_1) | instid1(VALU_DEP_2)
	v_fma_f16 v177, 0x35c8, v86, v176
	v_fmac_f16_e64 v176, 0xb5c8, v86
	v_add_f16_e64 v168, v177, v168
	v_mul_f16_e64 v177, 0xba62, v135
	s_delay_alu instid0(VALU_DEP_1) | instskip(NEXT) | instid1(VALU_DEP_1)
	v_fma_f16 v178, 0xb8d2, v76, v177
	v_add_f16_e64 v101, v178, v101
	v_mul_f16_e64 v178, 0x3964, v239
	s_delay_alu instid0(VALU_DEP_1) | instskip(NEXT) | instid1(VALU_DEP_1)
	v_fma_f16 v179, 0x39e9, v73, v178
	v_add_f16_e64 v20, v179, v100
	v_mul_f16_e64 v179, 0x2de8, v139
	v_mov_b32_e32 v100, v113
	scratch_store_b32 off, v20, off offset:228 ; 4-byte Folded Spill
	v_fma_f16 v180, 0x3bf7, v88, v179
	v_fmac_f16_e64 v179, 0xbbf7, v88
	s_delay_alu instid0(VALU_DEP_2) | instskip(SKIP_1) | instid1(VALU_DEP_1)
	v_add_f16_e64 v168, v180, v168
	v_mul_f16_e64 v180, 0x31e1, v140
	v_fma_f16 v181, 0xbbdd, v71, v180
	s_delay_alu instid0(VALU_DEP_1) | instskip(SKIP_1) | instid1(VALU_DEP_1)
	v_add_f16_e64 v101, v181, v101
	v_mul_f16_e64 v181, 0x3bb2, v144
	v_fma_f16 v182, 0xb461, v78, v181
	s_delay_alu instid0(VALU_DEP_1) | instskip(SKIP_1) | instid1(VALU_DEP_1)
	;; [unrolled: 4-line block ×3, first 2 shown]
	v_add_f16_e64 v101, v183, v101
	v_mul_f16_e64 v183, 0x39e9, v114
	v_fma_f16 v184, 0x3964, v89, v183
	v_fmac_f16_e64 v183, 0xb964, v89
	s_delay_alu instid0(VALU_DEP_2) | instskip(NEXT) | instid1(VALU_DEP_1)
	v_add_f16_e64 v184, v220, v184
	v_add_f16_e64 v184, v185, v184
	v_mul_f16_e64 v185, 0xb5c8, v150
	s_delay_alu instid0(VALU_DEP_1) | instskip(NEXT) | instid1(VALU_DEP_1)
	v_fma_f16 v186, 0x3b76, v82, v185
	v_add_f16_e64 v101, v186, v101
	v_mul_f16_e64 v186, 0xb8d2, v118
	v_mul_f16_e32 v118, 0x3722, v118
	s_delay_alu instid0(VALU_DEP_2) | instskip(SKIP_1) | instid1(VALU_DEP_2)
	v_fma_f16 v108, 0x3a62, v85, v186
	v_fmac_f16_e64 v186, 0xba62, v85
	v_add_f16_e64 v108, v108, v184
	v_mul_f16_e64 v184, 0xbacd, v149
	s_delay_alu instid0(VALU_DEP_1) | instskip(SKIP_1) | instid1(VALU_DEP_2)
	v_fma_f16 v110, 0x3836, v90, v184
	v_fmac_f16_e64 v184, 0xb836, v90
	v_add_f16_e64 v20, v110, v168
	v_mul_f16_e64 v168, 0xbbf7, v236
	v_mov_b32_e32 v110, v191
	scratch_store_b32 off, v20, off offset:236 ; 4-byte Folded Spill
	v_fma_f16 v187, 0x2de8, v77, v168
	v_mov_b32_e32 v20, v192
	s_delay_alu instid0(VALU_DEP_2) | instskip(SKIP_2) | instid1(VALU_DEP_2)
	v_add_f16_e64 v101, v187, v101
	v_mul_f16_e64 v187, 0xbbdd, v122
	v_mul_f16_e32 v122, 0x2de8, v122
	v_fma_f16 v188, 0x31e1, v81, v187
	v_fmac_f16_e64 v187, 0xb1e1, v81
	s_delay_alu instid0(VALU_DEP_2) | instskip(SKIP_2) | instid1(VALU_DEP_2)
	v_add_f16_e64 v108, v188, v108
	v_mul_f16_e64 v188, 0xbacd, v126
	v_mul_f16_e32 v126, 0xb461, v126
	v_fma_f16 v189, 0xb836, v83, v188
	v_fmac_f16_e64 v188, 0x3836, v83
	s_delay_alu instid0(VALU_DEP_2) | instskip(SKIP_2) | instid1(VALU_DEP_2)
	v_add_f16_e64 v108, v189, v108
	v_mul_f16_e64 v189, 0xb461, v130
	v_mul_f16_e64 v130, 0xb8d2, v130
	v_fma_f16 v190, 0xbbb2, v86, v189
	v_fmac_f16_e64 v189, 0x3bb2, v86
	s_delay_alu instid0(VALU_DEP_2) | instskip(SKIP_2) | instid1(VALU_DEP_2)
	v_add_f16_e64 v108, v190, v108
	v_mul_f16_e64 v190, 0xbbf7, v135
	v_mul_f16_e64 v135, 0xb964, v135
	v_fma_f16 v191, 0x2de8, v76, v190
	s_delay_alu instid0(VALU_DEP_1) | instskip(SKIP_1) | instid1(VALU_DEP_1)
	v_add_f16_e64 v102, v191, v102
	v_mul_f16_e64 v191, 0xb836, v239
	v_fma_f16 v192, 0xbacd, v73, v191
	s_delay_alu instid0(VALU_DEP_1) | instskip(SKIP_2) | instid1(VALU_DEP_2)
	v_add_f16_e64 v101, v192, v101
	v_mul_f16_e64 v192, 0x3722, v139
	v_mul_f16_e64 v139, 0xbacd, v139
	v_fma_f16 v193, 0xbb29, v88, v192
	v_fmac_f16_e64 v192, 0x3b29, v88
	s_delay_alu instid0(VALU_DEP_2) | instskip(SKIP_2) | instid1(VALU_DEP_2)
	v_add_f16_e64 v108, v193, v108
	v_mul_f16_e64 v193, 0xba62, v140
	v_mul_f16_e64 v140, 0xbb29, v140
	v_fma_f16 v194, 0xb8d2, v71, v193
	s_delay_alu instid0(VALU_DEP_1) | instskip(SKIP_2) | instid1(VALU_DEP_2)
	v_add_f16_e64 v102, v194, v102
	v_mul_f16_e64 v194, 0xb1e1, v144
	v_mul_f16_e64 v144, 0xbbf7, v144
	v_fma_f16 v142, 0xbbdd, v78, v194
	s_delay_alu instid0(VALU_DEP_1) | instskip(SKIP_2) | instid1(VALU_DEP_2)
	;; [unrolled: 5-line block ×3, first 2 shown]
	v_add_f16_e32 v102, v112, v102
	v_mul_f16_e32 v112, 0x3b76, v114
	v_mul_f16_e32 v114, 0x39e9, v115
	v_fmamk_f16 v115, v89, 0x35c8, v112
	s_delay_alu instid0(VALU_DEP_2) | instskip(SKIP_4) | instid1(VALU_DEP_1)
	v_fmamk_f16 v113, v87, 0x3964, v114
	v_fmac_f16_e32 v112, 0xb5c8, v89
	v_fmac_f16_e32 v114, 0xb964, v87
	v_fma_f16 v87, v76, 0x2de8, -v190
	v_add_f16_e64 v115, v220, v115
	v_add_f16_e32 v113, v113, v115
	v_mul_f16_e64 v115, 0x3b76, v149
	v_mul_f16_e64 v149, 0xbbdd, v149
	s_delay_alu instid0(VALU_DEP_2) | instskip(SKIP_1) | instid1(VALU_DEP_2)
	v_fma_f16 v195, 0xb5c8, v90, v115
	v_fmac_f16_e32 v115, 0x35c8, v90
	v_add_f16_e64 v108, v195, v108
	v_mul_f16_e64 v195, 0x3bb2, v150
	v_mul_f16_e64 v150, 0xba62, v150
	s_delay_alu instid0(VALU_DEP_2) | instskip(NEXT) | instid1(VALU_DEP_1)
	v_fma_f16 v196, 0xb461, v82, v195
	v_add_f16_e64 v102, v196, v102
	v_fma_f16 v196, 0x3b29, v85, v118
	v_fmac_f16_e32 v118, 0xbb29, v85
	v_fma_f16 v85, v71, 0xb8d2, -v193
	v_mov_b32_e32 v193, v41
	s_delay_alu instid0(VALU_DEP_4) | instskip(SKIP_2) | instid1(VALU_DEP_2)
	v_add_f16_e64 v113, v196, v113
	v_fma_f16 v196, 0x3bf7, v81, v122
	v_fmac_f16_e32 v122, 0xbbf7, v81
	v_add_f16_e64 v113, v196, v113
	v_mul_f16_e64 v196, 0x3b29, v236
	s_delay_alu instid0(VALU_DEP_1) | instskip(NEXT) | instid1(VALU_DEP_1)
	v_fma_f16 v197, 0x3722, v77, v196
	v_add_f16_e64 v102, v197, v102
	v_fma_f16 v197, 0x3bb2, v83, v126
	v_fmac_f16_e32 v126, 0xbbb2, v83
	s_delay_alu instid0(VALU_DEP_2) | instskip(SKIP_1) | instid1(VALU_DEP_1)
	v_add_f16_e64 v113, v197, v113
	v_add_f16_e64 v197, v224, v220
	;; [unrolled: 1-line block ×3, first 2 shown]
	v_mul_f16_e64 v222, 0x35c8, v239
	s_delay_alu instid0(VALU_DEP_2) | instskip(SKIP_1) | instid1(VALU_DEP_3)
	v_add_f16_e64 v197, v221, v197
	v_fma_f16 v221, 0x3a62, v86, v130
	v_fma_f16 v224, 0x3b76, v73, v222
	v_fmac_f16_e64 v130, 0xba62, v86
	s_delay_alu instid0(VALU_DEP_4) | instskip(NEXT) | instid1(VALU_DEP_4)
	v_add_f16_e64 v197, v95, v197
	v_add_f16_e64 v113, v221, v113
	v_fma_f16 v221, 0x39e9, v76, v135
	v_add_f16_e64 v102, v224, v102
	s_delay_alu instid0(VALU_DEP_4)
	v_add_f16_e64 v197, v42, v197
	scratch_load_b32 v42, off, off offset:188 ; 4-byte Folded Reload
	v_add_f16_e64 v103, v221, v103
	v_fma_f16 v221, 0x3836, v88, v139
	v_fmac_f16_e64 v139, 0xb836, v88
	v_add_f16_e64 v197, v223, v197
	s_delay_alu instid0(VALU_DEP_3) | instskip(SKIP_1) | instid1(VALU_DEP_3)
	v_add_f16_e64 v113, v221, v113
	v_fma_f16 v221, 0x3722, v71, v140
	v_add_f16_e64 v197, v54, v197
	s_delay_alu instid0(VALU_DEP_2) | instskip(NEXT) | instid1(VALU_DEP_2)
	v_add_f16_e64 v103, v221, v103
	v_add_f16_e64 v197, v53, v197
	v_fma_f16 v221, 0x2de8, v78, v144
	s_delay_alu instid0(VALU_DEP_2) | instskip(NEXT) | instid1(VALU_DEP_2)
	v_add_f16_e64 v197, v227, v197
	v_add_f16_e64 v103, v221, v103
	v_fma_f16 v221, 0xb461, v79, v146
	s_delay_alu instid0(VALU_DEP_3) | instskip(NEXT) | instid1(VALU_DEP_2)
	v_add_f16_e64 v197, v63, v197
	v_add_f16_e64 v103, v221, v103
	v_fma_f16 v221, 0x31e1, v90, v149
	v_fmac_f16_e64 v149, 0xb1e1, v90
	s_delay_alu instid0(VALU_DEP_4) | instskip(NEXT) | instid1(VALU_DEP_3)
	v_add_f16_e64 v197, v64, v197
	v_add_f16_e64 v113, v221, v113
	v_fma_f16 v221, 0xb8d2, v82, v150
	s_delay_alu instid0(VALU_DEP_3) | instskip(NEXT) | instid1(VALU_DEP_2)
	v_add_f16_e64 v197, v229, v197
	v_add_f16_e64 v103, v221, v103
	s_delay_alu instid0(VALU_DEP_2) | instskip(SKIP_1) | instid1(VALU_DEP_2)
	v_add_f16_e64 v197, v67, v197
	v_fma_f16 v221, 0xbacd, v77, v119
	v_add_f16_e64 v127, v68, v197
	v_mov_b32_e32 v197, v84
	s_delay_alu instid0(VALU_DEP_3) | instskip(SKIP_1) | instid1(VALU_DEP_4)
	v_add_f16_e64 v103, v221, v103
	v_fma_f16 v221, 0xbbdd, v73, v123
	v_add_f16_e64 v127, v233, v127
	s_delay_alu instid0(VALU_DEP_2) | instskip(NEXT) | instid1(VALU_DEP_2)
	v_add_f16_e64 v103, v221, v103
	v_add_f16_e64 v127, v198, v127
	v_mov_b32_e32 v198, v92
	s_waitcnt vmcnt(0)
	v_add_f16_e64 v92, v141, v42
	scratch_load_b32 v42, off, off offset:176 ; 4-byte Folded Reload
	v_fma_f16 v141, v71, 0xb461, -v164
	scratch_load_b32 v159, off, off offset:148 ; 4-byte Folded Reload
	v_add_f16_e64 v92, v141, v92
	v_fma_f16 v141, v78, 0x3b76, -v165
	v_mov_b32_e32 v165, v205
	v_dual_mov_b32 v205, v199 :: v_dual_mov_b32 v190, v80
	s_delay_alu instid0(VALU_DEP_3) | instskip(SKIP_2) | instid1(VALU_DEP_3)
	v_add_f16_e64 v92, v141, v92
	v_add_f16_e64 v141, v220, v167
	v_mov_b32_e32 v167, v156
	v_add_f16_e64 v92, v143, v92
	v_fma_f16 v143, v73, 0xb8d2, -v162
	scratch_load_b32 v162, off, off offset:132 ; 4-byte Folded Reload
	v_add_f16_e64 v141, v169, v141
	v_mov_b32_e32 v169, v209
	v_mov_b32_e32 v209, v105
	v_add_f16_e64 v109, v143, v109
	v_fma_f16 v143, v82, 0xbacd, -v170
	v_mov_b32_e32 v170, v225
	v_add_f16_e64 v141, v171, v141
	v_mov_b32_e32 v171, v226
	s_delay_alu instid0(VALU_DEP_4)
	v_add_f16_e64 v92, v143, v92
	v_fma_f16 v143, v76, 0xb8d2, -v177
	v_mov_b32_e32 v177, v91
	v_fma_f16 v76, v76, 0x39e9, -v135
	v_add_f16_e64 v141, v174, v141
	v_mov_b32_e32 v174, v231
	s_delay_alu instid0(VALU_DEP_2) | instskip(SKIP_1) | instid1(VALU_DEP_2)
	v_add_f16_e64 v141, v175, v141
	v_mov_b32_e32 v175, v232
	v_add_f16_e64 v141, v176, v141
	v_mov_b32_e32 v176, v234
	s_delay_alu instid0(VALU_DEP_2) | instskip(SKIP_1) | instid1(VALU_DEP_2)
	v_add_f16_e64 v141, v179, v141
	v_mov_b32_e32 v179, v153
	v_add_f16_e64 v141, v184, v141
	s_waitcnt vmcnt(2)
	v_add_f16_e64 v91, v143, v42
	v_add_f16_e64 v143, v220, v183
	v_dual_mov_b32 v184, v52 :: v_dual_mov_b32 v183, v51
	v_dual_mov_b32 v51, v69 :: v_dual_mov_b32 v52, v70
	s_delay_alu instid0(VALU_DEP_3) | instskip(SKIP_2) | instid1(VALU_DEP_3)
	v_add_f16_e64 v106, v106, v143
	v_fma_f16 v143, v77, 0xb8d2, -v173
	v_mov_b32_e32 v173, v230
	v_add_f16_e64 v106, v186, v106
	s_delay_alu instid0(VALU_DEP_3)
	v_add_f16_e64 v92, v143, v92
	v_fma_f16 v143, v71, 0xbbdd, -v180
	v_mov_b32_e32 v186, v99
	v_fma_f16 v71, v71, 0x3722, -v140
	v_add_f16_e64 v106, v187, v106
	v_mov_b32_e32 v180, v96
	v_add_f16_e64 v91, v143, v91
	v_fma_f16 v143, v78, 0xb461, -v181
	s_delay_alu instid0(VALU_DEP_4) | instskip(SKIP_1) | instid1(VALU_DEP_3)
	v_add_f16_e64 v106, v188, v106
	v_dual_mov_b32 v188, v75 :: v_dual_mov_b32 v187, v74
	v_add_f16_e64 v91, v143, v91
	v_fma_f16 v143, v79, 0x39e9, -v182
	s_delay_alu instid0(VALU_DEP_4)
	v_add_f16_e64 v106, v189, v106
	v_mov_b32_e32 v189, v104
	v_mov_b32_e32 v104, v208
	;; [unrolled: 1-line block ×3, first 2 shown]
	v_add_f16_e64 v91, v143, v91
	v_fma_f16 v143, v73, 0x39e9, -v178
	v_mov_b32_e32 v178, v212
	s_clause 0x1
	scratch_load_b32 v212, off, off offset:160
	scratch_load_b32 v181, off, off offset:152
	v_add_f16_e64 v89, v192, v106
	v_mov_b32_e32 v192, v20
	scratch_load_b32 v20, off, off offset:168 ; 4-byte Folded Reload
	v_add_f16_e64 v92, v143, v92
	v_fma_f16 v143, v82, 0x3b76, -v185
	v_add_f16_e64 v106, v220, v112
	v_dual_mov_b32 v185, v98 :: v_dual_mov_b32 v112, v217
	v_mov_b32_e32 v217, v206
	s_delay_alu instid0(VALU_DEP_4)
	v_add_f16_e64 v91, v143, v91
	v_fma_f16 v143, v77, 0x2de8, -v168
	scratch_load_b32 v168, off, off offset:128 ; 4-byte Folded Reload
	v_pack_b32_f16 v75, v107, v97
	v_pack_b32_f16 v70, v92, v137
	v_add_f16_e64 v91, v143, v91
	s_waitcnt vmcnt(1)
	v_add_f16_e32 v84, v87, v20
	scratch_load_b32 v20, off, off offset:164 ; 4-byte Folded Reload
	v_add_f16_e32 v87, v114, v106
	v_add_f16_e32 v84, v85, v84
	s_delay_alu instid0(VALU_DEP_2) | instskip(NEXT) | instid1(VALU_DEP_1)
	v_add_f16_e32 v85, v118, v87
	v_add_f16_e32 v81, v122, v85
	s_waitcnt vmcnt(0)
	v_add_f16_e32 v72, v76, v20
	scratch_load_b32 v20, off, off offset:232 ; 4-byte Folded Reload
	v_fma_f16 v76, v78, 0xbbdd, -v194
	v_add_f16_e32 v71, v71, v72
	v_fma_f16 v72, v78, 0x2de8, -v144
	s_delay_alu instid0(VALU_DEP_3)
	v_add_f16_e32 v76, v76, v84
	v_fma_f16 v78, v79, 0xbacd, -v142
	v_pack_b32_f16 v84, v102, v108
	v_mov_b32_e32 v142, v210
	v_add_f16_e32 v71, v72, v71
	v_fma_f16 v72, v79, 0xb461, -v146
	v_add_f16_e32 v76, v78, v76
	v_fma_f16 v79, v82, 0xb461, -v195
	;; [unrolled: 2-line block ×5, first 2 shown]
	v_pack_b32_f16 v82, v111, v127
	v_add_f16_e64 v78, v130, v78
	v_add_f16_e32 v71, v72, v71
	v_fma_f16 v72, v77, 0xbacd, -v119
	v_add_f16_e32 v76, v79, v76
	v_fma_f16 v79, v73, 0xbacd, -v191
	v_add_f16_e64 v78, v139, v78
	v_mov_b32_e32 v210, v93
	v_add_f16_e32 v71, v72, v71
	v_fma_f16 v72, v73, 0xbbdd, -v123
	v_add_f16_e32 v76, v81, v76
	v_pack_b32_f16 v81, v103, v113
	v_add_f16_e32 v77, v79, v91
	v_add_f16_e32 v79, v115, v89
	;; [unrolled: 1-line block ×3, first 2 shown]
	v_add_f16_e64 v78, v149, v78
	v_mov_b32_e32 v191, v110
	v_pack_b32_f16 v77, v77, v141
	v_mov_b32_e32 v113, v100
	v_pack_b32_f16 v76, v76, v79
	v_pack_b32_f16 v71, v71, v78
	s_waitcnt vmcnt(0)
	v_lshlrev_b32_e32 v73, 2, v20
	scratch_load_b32 v20, off, off offset:236 ; 4-byte Folded Reload
	s_waitcnt vmcnt(0)
	v_pack_b32_f16 v83, v101, v20
	s_clause 0x1
	scratch_load_b32 v20, off, off offset:216
	scratch_load_b32 v41, off, off offset:220
	s_waitcnt vmcnt(0)
	v_pack_b32_f16 v85, v41, v20
	s_clause 0x2
	scratch_load_b32 v156, off, off offset:116
	scratch_load_b32 v20, off, off offset:224
	scratch_load_b32 v41, off, off offset:228
	s_waitcnt vmcnt(0)
	v_pack_b32_f16 v86, v41, v20
	s_clause 0x2
	scratch_load_b32 v153, off, off offset:120
	;; [unrolled: 6-line block ×3, first 2 shown]
	scratch_load_b32 v41, off, off offset:212
	s_waitcnt vmcnt(0)
	v_pack_b32_f16 v88, v41, v20
	ds_store_2addr_b32 v73, v82, v81 offset1:1
	ds_store_2addr_b32 v73, v84, v83 offset0:2 offset1:3
	ds_store_2addr_b32 v73, v86, v85 offset0:4 offset1:5
	;; [unrolled: 1-line block ×3, first 2 shown]
	s_clause 0x1
	scratch_load_b32 v20, off, off offset:180
	scratch_load_b32 v41, off, off offset:184
	v_pack_b32_f16 v81, v109, v131
	s_waitcnt vmcnt(0)
	v_pack_b32_f16 v72, v41, v20
	s_clause 0x2
	scratch_load_b32 v20, off, off offset:192
	scratch_load_b32 v41, off, off offset:196
	;; [unrolled: 1-line block ×3, first 2 shown]
	s_waitcnt vmcnt(1)
	v_pack_b32_f16 v74, v41, v20
	scratch_load_b32 v20, off, off offset:172 ; 4-byte Folded Reload
	s_waitcnt vmcnt(0)
	v_pack_b32_f16 v69, v20, v218
	ds_store_2addr_b32 v73, v74, v72 offset0:8 offset1:9
	ds_store_2addr_b32 v73, v69, v75 offset0:10 offset1:11
	ds_store_2addr_b32 v73, v81, v70 offset0:12 offset1:13
	ds_store_2addr_b32 v73, v77, v76 offset0:14 offset1:15
	ds_store_b32 v73, v71 offset:64
.LBB0_13:
	s_or_b32 exec_lo, exec_lo, s0
	s_waitcnt lgkmcnt(0)
	s_waitcnt_vscnt null, 0x0
	s_barrier
	buffer_gl0_inv
	scratch_load_b32 v20, off, off offset:104 ; 4-byte Folded Reload
	ds_load_b32 v74, v207 offset:6528
	s_waitcnt lgkmcnt(0)
	v_lshrrev_b32_e32 v69, 16, v74
	s_waitcnt vmcnt(0)
	v_mul_f16_e32 v71, v20, v74
	s_delay_alu instid0(VALU_DEP_2)
	v_mul_f16_e32 v70, v20, v69
	scratch_load_b32 v20, off, off offset:68 ; 4-byte Folded Reload
	v_fma_f16 v71, v40, v69, -v71
	v_add_nc_u32_e32 v69, 0xe00, v207
	v_fmac_f16_e32 v70, v40, v74
	v_add_nc_u32_e32 v40, 0xc00, v207
	ds_load_2addr_b32 v[75:76], v69 offset0:124 offset1:175
	ds_load_2addr_b32 v[81:82], v40 offset0:150 offset1:201
	s_waitcnt lgkmcnt(1)
	v_lshrrev_b32_e32 v73, 16, v76
	v_lshrrev_b32_e32 v41, 16, v75
	s_waitcnt lgkmcnt(0)
	v_mul_f16_e64 v84, v175, v82
	s_waitcnt vmcnt(0)
	v_mul_f16_e32 v77, v20, v76
	v_mul_f16_e32 v72, v20, v73
	scratch_load_b32 v20, off, off offset:56 ; 4-byte Folded Reload
	v_fma_f16 v73, v39, v73, -v77
	v_fmac_f16_e32 v72, v39, v76
	v_add_nc_u32_e32 v39, 0x1600, v207
	ds_load_2addr_b32 v[77:78], v39 offset0:122 offset1:173
	s_waitcnt lgkmcnt(0)
	v_lshrrev_b32_e32 v79, 16, v77
	v_mul_f16_e64 v83, v176, v77
	s_waitcnt vmcnt(0)
	v_mul_f16_e32 v74, v20, v41
	v_mul_f16_e32 v42, v20, v75
	scratch_load_b32 v20, off, off offset:80 ; 4-byte Folded Reload
	v_fmac_f16_e32 v74, v37, v75
	v_fma_f16 v75, v37, v41, -v42
	v_lshrrev_b32_e32 v42, 16, v78
	v_lshrrev_b32_e32 v37, 16, v81
	s_waitcnt vmcnt(0)
	v_mul_f16_e32 v76, v20, v78
	s_delay_alu instid0(VALU_DEP_3)
	v_mul_f16_e32 v41, v20, v42
	scratch_load_b32 v20, off, off offset:92 ; 4-byte Folded Reload
	v_fma_f16 v42, v38, v42, -v76
	v_fmac_f16_e32 v41, v38, v78
	v_mul_f16_e64 v76, v176, v79
	v_lshrrev_b32_e32 v78, 16, v82
	v_fma_f16 v38, v36, v79, -v83
	v_mul_f16_e64 v83, v174, v37
	v_mul_f16_e64 v79, v174, v81
	v_fmac_f16_e32 v76, v36, v77
	v_mul_f16_e64 v77, v175, v78
	v_fma_f16 v78, v35, v78, -v84
	v_fmac_f16_e32 v83, v33, v81
	v_fma_f16 v84, v33, v37, -v79
	s_delay_alu instid0(VALU_DEP_4)
	v_fmac_f16_e32 v77, v35, v82
	v_add_nc_u32_e32 v35, 0x1400, v207
	ds_load_2addr_b32 v[81:82], v35 offset0:148 offset1:199
	s_waitcnt lgkmcnt(0)
	v_lshrrev_b32_e32 v79, 16, v82
	v_mul_f16_e64 v85, v173, v82
	v_lshrrev_b32_e32 v87, 16, v81
	v_mul_f16_e64 v88, v172, v81
	s_delay_alu instid0(VALU_DEP_4) | instskip(NEXT) | instid1(VALU_DEP_4)
	v_mul_f16_e64 v37, v173, v79
	v_fma_f16 v79, v34, v79, -v85
	ds_load_2addr_b32 v[85:86], v40 offset0:48 offset1:99
	v_mul_f16_e64 v36, v172, v87
	v_fmac_f16_e32 v37, v34, v82
	v_fma_f16 v34, v32, v87, -v88
	s_delay_alu instid0(VALU_DEP_3) | instskip(SKIP_4) | instid1(VALU_DEP_3)
	v_fmac_f16_e32 v36, v32, v81
	s_waitcnt lgkmcnt(0)
	v_lshrrev_b32_e32 v82, 16, v86
	v_mul_f16_e64 v89, v171, v86
	v_lshrrev_b32_e32 v33, 16, v85
	v_mul_f16_e64 v81, v171, v82
	s_delay_alu instid0(VALU_DEP_3) | instskip(NEXT) | instid1(VALU_DEP_3)
	v_fma_f16 v82, v31, v82, -v89
	v_mul_f16_e64 v89, v170, v33
	s_delay_alu instid0(VALU_DEP_3) | instskip(SKIP_1) | instid1(VALU_DEP_3)
	v_fmac_f16_e32 v81, v31, v86
	v_mul_f16_e64 v86, v170, v85
	v_fmac_f16_e32 v89, v29, v85
	s_delay_alu instid0(VALU_DEP_2)
	v_fma_f16 v90, v29, v33, -v86
	ds_load_2addr_b32 v[85:86], v35 offset0:46 offset1:97
	s_waitcnt lgkmcnt(0)
	v_lshrrev_b32_e32 v31, 16, v86
	v_mul_f16_e64 v33, v169, v86
	v_mul_f16_e64 v87, v168, v85
	s_delay_alu instid0(VALU_DEP_3) | instskip(NEXT) | instid1(VALU_DEP_3)
	v_mul_f16_e64 v91, v169, v31
	v_fma_f16 v92, v30, v31, -v33
	v_add_nc_u32_e32 v31, 0x800, v207
	s_delay_alu instid0(VALU_DEP_3) | instskip(SKIP_4) | instid1(VALU_DEP_2)
	v_fmac_f16_e32 v91, v30, v86
	v_lshrrev_b32_e32 v86, 16, v85
	ds_load_2addr_b32 v[32:33], v31 offset0:202 offset1:253
	v_mul_f16_e64 v93, v168, v86
	v_fma_f16 v96, v28, v86, -v87
	v_fmac_f16_e32 v93, v28, v85
	s_waitcnt lgkmcnt(0)
	v_lshrrev_b32_e32 v85, 16, v33
	v_lshrrev_b32_e32 v29, 16, v32
	v_mul_f16_e64 v30, v166, v32
	s_delay_alu instid0(VALU_DEP_2) | instskip(NEXT) | instid1(VALU_DEP_2)
	v_mul_f16_e64 v97, v166, v29
	v_fma_f16 v98, v25, v29, -v30
	s_delay_alu instid0(VALU_DEP_2)
	v_fmac_f16_e32 v97, v25, v32
	s_waitcnt vmcnt(0)
	v_mul_f16_e32 v88, v20, v33
	v_mul_f16_e32 v94, v20, v85
	scratch_load_b32 v20, off, off offset:100 ; 4-byte Folded Reload
	v_fma_f16 v95, v27, v85, -v88
	v_fmac_f16_e32 v94, v27, v33
	v_add_nc_u32_e32 v27, 0x1000, v207
	ds_load_2addr_b32 v[29:30], v27 offset0:200 offset1:251
	s_waitcnt lgkmcnt(0)
	v_lshrrev_b32_e32 v32, 16, v30
	v_mul_f16_e64 v33, v165, v30
	s_delay_alu instid0(VALU_DEP_2) | instskip(NEXT) | instid1(VALU_DEP_2)
	v_mul_f16_e64 v99, v165, v32
	v_fma_f16 v100, v26, v32, -v33
	s_delay_alu instid0(VALU_DEP_2) | instskip(SKIP_2) | instid1(VALU_DEP_1)
	v_fmac_f16_e32 v99, v26, v30
	v_lshrrev_b32_e32 v30, 16, v29
	s_waitcnt vmcnt(0)
	v_mul_f16_e32 v101, v20, v30
	v_mul_f16_e32 v32, v20, v29
	scratch_load_b32 v20, off, off offset:88 ; 4-byte Folded Reload
	v_fmac_f16_e32 v101, v22, v29
	ds_load_2addr_b32 v[28:29], v31 offset0:100 offset1:151
	v_fma_f16 v30, v22, v30, -v32
	s_waitcnt lgkmcnt(0)
	v_lshrrev_b32_e32 v25, 16, v28
	v_mul_f16_e64 v26, v159, v28
	v_lshrrev_b32_e32 v33, 16, v29
	v_mul_f16_e64 v85, v163, v29
	s_delay_alu instid0(VALU_DEP_4) | instskip(NEXT) | instid1(VALU_DEP_4)
	v_mul_f16_e64 v105, v159, v25
	v_fma_f16 v106, v200, v25, -v26
	ds_load_2addr_b32 v[25:26], v27 offset0:98 offset1:149
	v_mul_f16_e64 v102, v163, v33
	v_fma_f16 v103, v21, v33, -v85
	v_fmac_f16_e64 v105, v200, v28
	s_delay_alu instid0(VALU_DEP_3) | instskip(SKIP_4) | instid1(VALU_DEP_3)
	v_fmac_f16_e32 v102, v21, v29
	s_waitcnt lgkmcnt(0)
	v_lshrrev_b32_e32 v21, 16, v26
	v_mul_f16_e32 v28, v112, v26
	v_mul_f16_e64 v29, v157, v25
	v_mul_f16_e32 v107, v112, v21
	s_delay_alu instid0(VALU_DEP_3) | instskip(NEXT) | instid1(VALU_DEP_2)
	v_fma_f16 v108, v201, v21, -v28
	v_fmac_f16_e64 v107, v201, v26
	v_lshrrev_b32_e32 v26, 16, v25
	s_delay_alu instid0(VALU_DEP_1) | instskip(SKIP_1) | instid1(VALU_DEP_2)
	v_mul_f16_e64 v28, v157, v26
	v_fma_f16 v26, v24, v26, -v29
	v_fmac_f16_e32 v28, v24, v25
	v_add_nc_u32_e32 v25, 0x600, v207
	ds_load_2addr_b32 v[21:22], v25 offset0:126 offset1:177
	s_waitcnt lgkmcnt(0)
	v_lshrrev_b32_e32 v32, 16, v22
	s_waitcnt vmcnt(0)
	v_mul_f16_e32 v33, v20, v22
	s_delay_alu instid0(VALU_DEP_2) | instskip(NEXT) | instid1(VALU_DEP_2)
	v_mul_f16_e32 v85, v20, v32
	v_fma_f16 v32, v23, v32, -v33
	s_delay_alu instid0(VALU_DEP_2)
	v_fmac_f16_e32 v85, v23, v22
	ds_load_2addr_b32 v[23:24], v207 offset1:51
	v_add_f16_e32 v29, v32, v26
	v_sub_f16_e32 v109, v32, v26
	v_sub_f16_e32 v110, v85, v28
	s_waitcnt lgkmcnt(0)
	v_lshrrev_b32_e32 v22, 16, v23
	s_delay_alu instid0(VALU_DEP_1) | instskip(SKIP_3) | instid1(VALU_DEP_4)
	v_add_f16_e32 v33, v22, v32
	v_add_f16_e32 v32, v85, v28
	v_fmac_f16_e32 v22, -0.5, v29
	v_add_f16_e32 v29, v23, v85
	v_add_f16_e32 v26, v33, v26
	s_delay_alu instid0(VALU_DEP_4) | instskip(NEXT) | instid1(VALU_DEP_3)
	v_fma_f16 v111, -0.5, v32, v23
	v_add_f16_e32 v29, v29, v28
	v_fmamk_f16 v28, v110, 0x3aee, v22
	v_fmac_f16_e32 v22, 0xbaee, v110
	s_delay_alu instid0(VALU_DEP_4) | instskip(SKIP_3) | instid1(VALU_DEP_4)
	v_fmamk_f16 v23, v109, 0xbaee, v111
	v_fmac_f16_e32 v111, 0x3aee, v109
	v_pack_b32_f16 v26, v29, v26
	v_add_f16_e32 v109, v24, v105
	v_pack_b32_f16 v112, v23, v28
	v_add_nc_u32_e32 v23, 0x400, v207
	ds_load_2addr_b32 v[28:29], v207 offset0:102 offset1:153
	ds_load_2addr_b32 v[32:33], v207 offset0:204 offset1:255
	;; [unrolled: 1-line block ×4, first 2 shown]
	s_waitcnt lgkmcnt(0)
	s_barrier
	buffer_gl0_inv
	scratch_load_b32 v20, off, off offset:52 ; 4-byte Folded Reload
	v_pack_b32_f16 v22, v111, v22
	ds_store_2addr_b32 v113, v26, v112 offset1:17
	v_lshrrev_b32_e32 v26, 16, v24
	ds_store_b32 v113, v22 offset:136
	v_add_f16_e32 v22, v105, v107
	v_add_f16_e32 v110, v26, v106
	s_delay_alu instid0(VALU_DEP_2) | instskip(SKIP_1) | instid1(VALU_DEP_1)
	v_fmac_f16_e32 v24, -0.5, v22
	v_add_f16_e32 v22, v106, v108
	v_fmac_f16_e32 v26, -0.5, v22
	v_sub_f16_e32 v22, v106, v108
	s_delay_alu instid0(VALU_DEP_1) | instskip(SKIP_2) | instid1(VALU_DEP_1)
	v_fmamk_f16 v106, v22, 0xbaee, v24
	v_fmac_f16_e32 v24, 0x3aee, v22
	v_sub_f16_e32 v22, v105, v107
	v_fmamk_f16 v105, v22, 0x3aee, v26
	v_fmac_f16_e32 v26, 0xbaee, v22
	s_delay_alu instid0(VALU_DEP_1) | instskip(SKIP_2) | instid1(VALU_DEP_1)
	v_pack_b32_f16 v22, v24, v26
	v_add_f16_e32 v24, v109, v107
	v_add_f16_e32 v26, v110, v108
	v_pack_b32_f16 v24, v24, v26
	v_pack_b32_f16 v26, v106, v105
	s_waitcnt vmcnt(0)
	ds_store_2addr_b32 v20, v24, v26 offset1:17
	ds_store_b32 v20, v22 offset:136
	v_lshrrev_b32_e32 v22, 16, v28
	v_add_f16_e32 v24, v103, v30
	s_delay_alu instid0(VALU_DEP_2) | instskip(NEXT) | instid1(VALU_DEP_2)
	v_add_f16_e32 v26, v22, v103
	v_fmac_f16_e32 v22, -0.5, v24
	v_sub_f16_e32 v24, v103, v30
	v_add_f16_e32 v103, v102, v101
	s_delay_alu instid0(VALU_DEP_4) | instskip(SKIP_1) | instid1(VALU_DEP_3)
	v_add_f16_e32 v26, v26, v30
	v_add_f16_e32 v30, v28, v102
	v_fma_f16 v28, -0.5, v103, v28
	s_delay_alu instid0(VALU_DEP_2) | instskip(SKIP_1) | instid1(VALU_DEP_2)
	v_add_f16_e32 v30, v30, v101
	v_sub_f16_e32 v101, v102, v101
	v_pack_b32_f16 v26, v30, v26
	s_delay_alu instid0(VALU_DEP_4) | instskip(NEXT) | instid1(VALU_DEP_3)
	v_fmamk_f16 v30, v24, 0xbaee, v28
	v_fmamk_f16 v102, v101, 0x3aee, v22
	v_fmac_f16_e32 v28, 0x3aee, v24
	v_fmac_f16_e32 v22, 0xbaee, v101
	v_lshrrev_b32_e32 v24, 16, v29
	s_delay_alu instid0(VALU_DEP_4) | instskip(NEXT) | instid1(VALU_DEP_3)
	v_pack_b32_f16 v30, v30, v102
	v_pack_b32_f16 v22, v28, v22
	s_delay_alu instid0(VALU_DEP_3) | instskip(SKIP_4) | instid1(VALU_DEP_1)
	v_add_f16_e32 v28, v24, v98
	ds_store_2addr_b32 v154, v26, v30 offset1:17
	v_add_f16_e32 v26, v29, v97
	ds_store_b32 v154, v22 offset:136
	v_add_f16_e32 v22, v97, v99
	v_fmac_f16_e32 v29, -0.5, v22
	v_add_f16_e32 v22, v98, v100
	s_delay_alu instid0(VALU_DEP_1) | instskip(SKIP_1) | instid1(VALU_DEP_1)
	v_fmac_f16_e32 v24, -0.5, v22
	v_sub_f16_e32 v22, v98, v100
	v_fmamk_f16 v30, v22, 0xbaee, v29
	v_fmac_f16_e32 v29, 0x3aee, v22
	v_sub_f16_e32 v22, v97, v99
	s_delay_alu instid0(VALU_DEP_1) | instskip(SKIP_1) | instid1(VALU_DEP_1)
	v_fmamk_f16 v97, v22, 0x3aee, v24
	v_fmac_f16_e32 v24, 0xbaee, v22
	v_pack_b32_f16 v22, v29, v24
	v_add_f16_e32 v24, v26, v99
	v_add_f16_e32 v26, v28, v100
	s_delay_alu instid0(VALU_DEP_1)
	v_pack_b32_f16 v24, v24, v26
	v_pack_b32_f16 v26, v30, v97
	ds_store_2addr_b32 v153, v24, v26 offset1:17
	ds_store_b32 v153, v22 offset:136
	v_add_f16_e32 v22, v89, v91
	v_lshrrev_b32_e32 v24, 16, v33
	v_add_f16_e32 v26, v33, v89
	s_delay_alu instid0(VALU_DEP_3) | instskip(SKIP_1) | instid1(VALU_DEP_4)
	v_fmac_f16_e32 v33, -0.5, v22
	v_add_f16_e32 v22, v90, v92
	v_add_f16_e32 v28, v24, v90
	s_delay_alu instid0(VALU_DEP_2) | instskip(SKIP_1) | instid1(VALU_DEP_1)
	v_fmac_f16_e32 v24, -0.5, v22
	v_sub_f16_e32 v22, v90, v92
	v_fmamk_f16 v29, v22, 0xbaee, v33
	v_fmac_f16_e32 v33, 0x3aee, v22
	v_sub_f16_e32 v22, v89, v91
	v_add_f16_e32 v89, v95, v96
	s_delay_alu instid0(VALU_DEP_2) | instskip(SKIP_2) | instid1(VALU_DEP_2)
	v_fmamk_f16 v30, v22, 0x3aee, v24
	v_fmac_f16_e32 v24, 0xbaee, v22
	v_add_f16_e32 v22, v94, v93
	v_pack_b32_f16 v24, v33, v24
	v_lshrrev_b32_e32 v33, 16, v32
	s_delay_alu instid0(VALU_DEP_3) | instskip(SKIP_1) | instid1(VALU_DEP_3)
	v_fma_f16 v22, -0.5, v22, v32
	v_add_f16_e32 v32, v32, v94
	v_add_f16_e32 v90, v33, v95
	v_fmac_f16_e32 v33, -0.5, v89
	v_sub_f16_e32 v89, v95, v96
	s_delay_alu instid0(VALU_DEP_4) | instskip(SKIP_2) | instid1(VALU_DEP_2)
	v_add_f16_e32 v32, v32, v93
	v_sub_f16_e32 v93, v94, v93
	v_add_f16_e32 v90, v90, v96
	v_fmamk_f16 v94, v93, 0x3aee, v33
	s_delay_alu instid0(VALU_DEP_2) | instskip(SKIP_3) | instid1(VALU_DEP_3)
	v_pack_b32_f16 v32, v32, v90
	v_fmamk_f16 v90, v89, 0xbaee, v22
	v_fmac_f16_e32 v22, 0x3aee, v89
	v_fmac_f16_e32 v33, 0xbaee, v93
	v_pack_b32_f16 v90, v90, v94
	s_delay_alu instid0(VALU_DEP_2)
	v_pack_b32_f16 v22, v22, v33
	v_add_f16_e32 v33, v85, v81
	ds_store_2addr_b32 v142, v32, v90 offset1:17
	v_lshrrev_b32_e32 v32, 16, v85
	ds_store_b32 v142, v22 offset:136
	v_add_f16_e32 v22, v26, v91
	v_add_f16_e32 v26, v28, v92
	;; [unrolled: 1-line block ×3, first 2 shown]
	s_delay_alu instid0(VALU_DEP_2)
	v_pack_b32_f16 v22, v22, v26
	v_pack_b32_f16 v26, v29, v30
	ds_store_2addr_b32 v156, v22, v26 offset1:17
	ds_store_b32 v156, v24 offset:136
	v_add_f16_e32 v22, v83, v37
	v_lshrrev_b32_e32 v24, 16, v86
	v_add_f16_e32 v26, v86, v83
	s_delay_alu instid0(VALU_DEP_3) | instskip(SKIP_1) | instid1(VALU_DEP_4)
	v_fmac_f16_e32 v86, -0.5, v22
	v_add_f16_e32 v22, v84, v79
	v_add_f16_e32 v28, v24, v84
	s_delay_alu instid0(VALU_DEP_2) | instskip(SKIP_2) | instid1(VALU_DEP_2)
	v_fmac_f16_e32 v24, -0.5, v22
	v_sub_f16_e32 v22, v84, v79
	v_add_f16_e32 v84, v32, v82
	v_fmamk_f16 v29, v22, 0xbaee, v86
	v_fmac_f16_e32 v86, 0x3aee, v22
	v_sub_f16_e32 v22, v83, v37
	v_add_f16_e32 v83, v82, v34
	v_sub_f16_e32 v82, v82, v34
	v_add_f16_e32 v34, v84, v34
	s_delay_alu instid0(VALU_DEP_4)
	v_fmamk_f16 v30, v22, 0x3aee, v24
	v_fmac_f16_e32 v24, 0xbaee, v22
	v_add_f16_e32 v22, v81, v36
	v_fmac_f16_e32 v32, -0.5, v83
	v_sub_f16_e32 v36, v81, v36
	v_pack_b32_f16 v33, v33, v34
	v_pack_b32_f16 v24, v86, v24
	v_fma_f16 v22, -0.5, v22, v85
	s_delay_alu instid0(VALU_DEP_4) | instskip(SKIP_1) | instid1(VALU_DEP_3)
	v_fmamk_f16 v81, v36, 0x3aee, v32
	v_fmac_f16_e32 v32, 0xbaee, v36
	v_fmamk_f16 v34, v82, 0xbaee, v22
	v_fmac_f16_e32 v22, 0x3aee, v82
	s_delay_alu instid0(VALU_DEP_2) | instskip(NEXT) | instid1(VALU_DEP_2)
	v_pack_b32_f16 v34, v34, v81
	v_pack_b32_f16 v22, v22, v32
	ds_store_2addr_b32 v155, v33, v34 offset1:17
	ds_store_b32 v155, v22 offset:136
	v_add_f16_e32 v22, v26, v37
	v_add_f16_e32 v26, v28, v79
	;; [unrolled: 1-line block ×3, first 2 shown]
	v_lshrrev_b32_e32 v37, 16, v21
	s_delay_alu instid0(VALU_DEP_3)
	v_pack_b32_f16 v22, v22, v26
	v_pack_b32_f16 v26, v29, v30
	ds_store_2addr_b32 v141, v22, v26 offset1:17
	ds_store_b32 v141, v24 offset:136
	scratch_load_b32 v20, off, off offset:60 ; 4-byte Folded Reload
	v_lshrrev_b32_e32 v22, 16, v87
	v_add_f16_e32 v24, v78, v38
	v_add_f16_e32 v28, v28, v76
	;; [unrolled: 1-line block ×3, first 2 shown]
	v_sub_f16_e32 v30, v77, v76
	v_add_f16_e32 v26, v22, v78
	v_fmac_f16_e32 v22, -0.5, v24
	v_sub_f16_e32 v24, v78, v38
	s_delay_alu instid0(VALU_DEP_3) | instskip(NEXT) | instid1(VALU_DEP_3)
	v_add_f16_e32 v26, v26, v38
	v_fmamk_f16 v32, v30, 0x3aee, v22
	v_fmac_f16_e32 v22, 0xbaee, v30
	v_add_f16_e32 v38, v21, v72
	s_delay_alu instid0(VALU_DEP_4) | instskip(SKIP_1) | instid1(VALU_DEP_1)
	v_pack_b32_f16 v26, v28, v26
	v_fma_f16 v28, -0.5, v29, v87
	v_fmamk_f16 v29, v24, 0xbaee, v28
	v_fmac_f16_e32 v28, 0x3aee, v24
	s_delay_alu instid0(VALU_DEP_2) | instskip(SKIP_1) | instid1(VALU_DEP_3)
	v_pack_b32_f16 v29, v29, v32
	v_add_f16_e32 v32, v88, v74
	v_pack_b32_f16 v22, v28, v22
	ds_store_2addr_b32 v152, v26, v29 offset1:17
	v_add_f16_e32 v26, v74, v41
	v_lshrrev_b32_e32 v29, 16, v88
	ds_store_b32 v152, v22 offset:136
	v_add_f16_e32 v22, v32, v41
	v_fmac_f16_e32 v88, -0.5, v26
	v_add_f16_e32 v26, v75, v42
	v_add_f16_e32 v33, v29, v75
	s_delay_alu instid0(VALU_DEP_2) | instskip(SKIP_1) | instid1(VALU_DEP_3)
	v_fmac_f16_e32 v29, -0.5, v26
	v_sub_f16_e32 v26, v75, v42
	v_add_f16_e32 v24, v33, v42
	s_delay_alu instid0(VALU_DEP_2) | instskip(SKIP_4) | instid1(VALU_DEP_3)
	v_fmamk_f16 v34, v26, 0xbaee, v88
	v_fmac_f16_e32 v88, 0x3aee, v26
	v_sub_f16_e32 v26, v74, v41
	v_add_f16_e32 v74, v37, v73
	v_pack_b32_f16 v22, v22, v24
	v_fmamk_f16 v36, v26, 0x3aee, v29
	v_fmac_f16_e32 v29, 0xbaee, v26
	s_delay_alu instid0(VALU_DEP_2) | instskip(NEXT) | instid1(VALU_DEP_2)
	v_pack_b32_f16 v24, v34, v36
	v_pack_b32_f16 v26, v88, v29
	v_add_f16_e32 v29, v72, v70
	s_waitcnt vmcnt(0)
	ds_store_2addr_b32 v20, v22, v24 offset1:17
	ds_store_b32 v20, v26 offset:136
	v_fmac_f16_e32 v21, -0.5, v29
	v_add_f16_e32 v29, v73, v71
	v_add_f16_e32 v22, v38, v70
	v_add_f16_e32 v24, v74, v71
	v_lshrrev_b32_e32 v20, 16, v13
	s_delay_alu instid0(VALU_DEP_4) | instskip(SKIP_1) | instid1(VALU_DEP_4)
	v_fmac_f16_e32 v37, -0.5, v29
	v_sub_f16_e32 v29, v73, v71
	v_pack_b32_f16 v22, v22, v24
	s_delay_alu instid0(VALU_DEP_2) | instskip(SKIP_2) | instid1(VALU_DEP_1)
	v_fmamk_f16 v73, v29, 0xbaee, v21
	v_fmac_f16_e32 v21, 0x3aee, v29
	v_sub_f16_e32 v29, v72, v70
	v_fmamk_f16 v72, v29, 0x3aee, v37
	v_fmac_f16_e32 v37, 0xbaee, v29
	s_delay_alu instid0(VALU_DEP_2) | instskip(NEXT) | instid1(VALU_DEP_2)
	v_pack_b32_f16 v24, v73, v72
	v_pack_b32_f16 v21, v21, v37
	ds_store_2addr_b32 v162, v22, v24 offset1:17
	ds_store_b32 v162, v21 offset:136
	s_waitcnt lgkmcnt(0)
	s_barrier
	buffer_gl0_inv
	ds_load_2addr_b32 v[21:22], v23 offset0:50 offset1:101
	ds_load_2addr_b32 v[70:71], v207 offset0:204 offset1:255
	;; [unrolled: 1-line block ×7, first 2 shown]
	s_waitcnt lgkmcnt(6)
	v_lshrrev_b32_e32 v24, 16, v21
	v_lshrrev_b32_e32 v26, 16, v22
	v_mul_f16_e32 v29, v20, v21
	v_mul_f16_e32 v32, v20, v22
	s_delay_alu instid0(VALU_DEP_4) | instskip(NEXT) | instid1(VALU_DEP_4)
	v_mul_f16_e32 v85, v20, v24
	v_mul_f16_e32 v30, v20, v26
	v_lshrrev_b32_e32 v20, 16, v15
	v_fma_f16 v86, v13, v24, -v29
	v_fma_f16 v41, v13, v26, -v32
	v_fmac_f16_e32 v85, v13, v21
	v_fmac_f16_e32 v30, v13, v22
	ds_load_2addr_b32 v[21:22], v31 offset0:100 offset1:151
	s_waitcnt lgkmcnt(5)
	v_lshrrev_b32_e32 v13, 16, v73
	v_mul_f16_e64 v26, v217, v72
	s_waitcnt lgkmcnt(4)
	v_mul_f16_e64 v32, v216, v75
	s_waitcnt lgkmcnt(0)
	v_lshrrev_b32_e32 v33, 16, v21
	v_lshrrev_b32_e32 v34, 16, v22
	v_mul_f16_e32 v76, v20, v22
	s_delay_alu instid0(VALU_DEP_3) | instskip(NEXT) | instid1(VALU_DEP_3)
	v_mul_f16_e32 v99, v20, v33
	v_mul_f16_e32 v28, v20, v34
	s_delay_alu instid0(VALU_DEP_2) | instskip(SKIP_1) | instid1(VALU_DEP_3)
	v_fmac_f16_e32 v99, v15, v21
	v_mul_f16_e32 v21, v20, v21
	v_fmac_f16_e32 v28, v15, v22
	v_lshrrev_b32_e32 v20, 16, v14
	s_delay_alu instid0(VALU_DEP_3) | instskip(SKIP_4) | instid1(VALU_DEP_3)
	v_fma_f16 v98, v15, v33, -v21
	ds_load_2addr_b32 v[21:22], v207 offset0:102 offset1:153
	v_mul_f16_e32 v91, v20, v13
	v_fma_f16 v33, v15, v34, -v76
	v_lshrrev_b32_e32 v15, 16, v71
	v_fmac_f16_e32 v91, v14, v73
	s_waitcnt lgkmcnt(0)
	v_lshrrev_b32_e32 v24, 16, v22
	v_mul_f16_e64 v29, v208, v22
	s_delay_alu instid0(VALU_DEP_2) | instskip(NEXT) | instid1(VALU_DEP_2)
	v_mul_f16_e64 v88, v208, v24
	v_fma_f16 v87, v12, v24, -v29
	v_lshrrev_b32_e32 v24, 16, v70
	v_mul_f16_e64 v29, v208, v70
	s_delay_alu instid0(VALU_DEP_4) | instskip(SKIP_1) | instid1(VALU_DEP_4)
	v_fmac_f16_e32 v88, v12, v22
	v_mul_f16_e64 v22, v133, v71
	v_mul_f16_e64 v38, v208, v24
	s_delay_alu instid0(VALU_DEP_4) | instskip(SKIP_4) | instid1(VALU_DEP_4)
	v_fma_f16 v42, v12, v24, -v29
	v_mul_f16_e32 v24, v20, v73
	v_lshrrev_b32_e32 v29, 16, v75
	v_fma_f16 v22, v4, v15, -v22
	v_fmac_f16_e32 v38, v12, v70
	v_fma_f16 v90, v14, v13, -v24
	v_lshrrev_b32_e32 v13, 16, v74
	v_mul_f16_e32 v24, v20, v74
	v_mul_f16_e64 v12, v216, v29
	s_delay_alu instid0(VALU_DEP_3) | instskip(NEXT) | instid1(VALU_DEP_3)
	v_mul_f16_e32 v36, v20, v13
	v_fma_f16 v37, v14, v13, -v24
	v_lshrrev_b32_e32 v24, 16, v72
	v_lshrrev_b32_e32 v20, 16, v1
	v_fmac_f16_e32 v12, v6, v75
	v_fmac_f16_e32 v36, v14, v74
	v_mul_f16_e64 v14, v133, v15
	v_mul_f16_e64 v13, v217, v24
	v_fma_f16 v15, v5, v24, -v26
	v_fma_f16 v6, v6, v29, -v32
	s_delay_alu instid0(VALU_DEP_4)
	v_fmac_f16_e32 v14, v4, v71
	ds_load_2addr_b32 v[70:71], v31 offset0:202 offset1:253
	v_fmac_f16_e32 v13, v5, v72
	ds_load_2addr_b32 v[72:73], v40 offset0:150 offset1:201
	s_waitcnt lgkmcnt(1)
	v_lshrrev_b32_e32 v5, 16, v70
	v_mul_f16_e64 v24, v214, v70
	s_waitcnt lgkmcnt(0)
	v_mul_f16_e32 v26, v20, v72
	v_mul_f16_e32 v29, v20, v73
	v_mul_f16_e64 v4, v214, v5
	v_fma_f16 v5, v7, v5, -v24
	v_lshrrev_b32_e32 v24, 16, v73
	s_delay_alu instid0(VALU_DEP_3) | instskip(SKIP_1) | instid1(VALU_DEP_3)
	v_fmac_f16_e32 v4, v7, v70
	v_lshrrev_b32_e32 v7, 16, v72
	v_mul_f16_e32 v70, v20, v24
	s_delay_alu instid0(VALU_DEP_2) | instskip(NEXT) | instid1(VALU_DEP_2)
	v_mul_f16_e64 v142, v20, v7
	v_fmac_f16_e32 v70, v1, v73
	v_fma_f16 v144, v1, v7, -v26
	v_lshrrev_b32_e32 v7, 16, v78
	v_mul_f16_e64 v26, v209, v78
	v_fmac_f16_e64 v142, v1, v72
	ds_load_2addr_b32 v[72:73], v27 offset0:200 offset1:251
	v_lshrrev_b32_e32 v20, 16, v66
	s_waitcnt lgkmcnt(0)
	v_lshrrev_b32_e32 v34, 16, v73
	v_lshrrev_b32_e32 v32, 16, v72
	v_mul_f16_e64 v77, v205, v73
	s_delay_alu instid0(VALU_DEP_3) | instskip(NEXT) | instid1(VALU_DEP_3)
	v_mul_f16_e64 v74, v205, v34
	v_mul_f16_e64 v92, v205, v32
	s_delay_alu instid0(VALU_DEP_3) | instskip(SKIP_1) | instid1(VALU_DEP_4)
	v_fma_f16 v77, v3, v34, -v77
	v_mul_f16_e64 v34, v219, v84
	v_fmac_f16_e32 v74, v3, v73
	v_lshrrev_b32_e32 v73, 16, v71
	v_fmac_f16_e32 v92, v3, v72
	v_mul_f16_e64 v72, v205, v72
	s_delay_alu instid0(VALU_DEP_3) | instskip(NEXT) | instid1(VALU_DEP_2)
	v_mul_f16_e64 v143, v209, v73
	v_fma_f16 v93, v3, v32, -v72
	v_fma_f16 v72, v0, v7, -v26
	v_lshrrev_b32_e32 v26, 16, v81
	s_delay_alu instid0(VALU_DEP_4) | instskip(SKIP_2) | instid1(VALU_DEP_4)
	v_fmac_f16_e64 v143, v0, v71
	v_mul_f16_e64 v71, v209, v71
	v_lshrrev_b32_e32 v32, 16, v84
	v_mul_f16_e64 v3, v204, v26
	s_delay_alu instid0(VALU_DEP_3)
	v_fma_f16 v141, v0, v73, -v71
	v_mul_f16_e64 v71, v209, v7
	v_fma_f16 v73, v1, v24, -v29
	v_lshrrev_b32_e32 v1, 16, v82
	v_mul_f16_e64 v7, v167, v82
	v_mul_f16_e64 v29, v204, v81
	v_fmac_f16_e32 v71, v0, v78
	v_lshrrev_b32_e32 v0, 16, v79
	v_mul_f16_e64 v101, v167, v1
	v_fma_f16 v100, v2, v1, -v7
	v_lshrrev_b32_e32 v1, 16, v83
	v_mul_f16_e64 v7, v167, v83
	v_fmac_f16_e32 v3, v9, v81
	v_fmac_f16_e32 v101, v2, v82
	ds_load_2addr_b32 v[81:82], v39 offset0:122 offset1:173
	v_mul_f16_e64 v75, v167, v1
	v_fma_f16 v76, v2, v1, -v7
	v_mul_f16_e64 v1, v213, v79
	v_mul_f16_e64 v24, v219, v32
	v_sub_f16_e64 v145, v98, v100
	v_fmac_f16_e32 v75, v2, v83
	v_mul_f16_e64 v2, v213, v0
	v_fma_f16 v7, v8, v0, -v1
	ds_load_2addr_b32 v[0:1], v35 offset0:46 offset1:97
	v_fmac_f16_e32 v24, v10, v84
	v_add_f16_e64 v146, v98, v100
	v_fmac_f16_e32 v2, v8, v79
	v_fma_f16 v8, v9, v26, -v29
	v_fma_f16 v9, v10, v32, -v34
	v_sub_f16_e64 v147, v141, v144
	v_add_f16_e64 v148, v141, v144
	s_waitcnt lgkmcnt(1)
	v_mul_f16_e32 v32, v20, v82
	s_waitcnt lgkmcnt(0)
	v_lshrrev_b32_e32 v26, 16, v0
	v_mul_f16_e64 v29, v235, v0
	v_lshrrev_b32_e32 v34, 16, v1
	s_delay_alu instid0(VALU_DEP_3) | instskip(NEXT) | instid1(VALU_DEP_3)
	v_mul_f16_e64 v10, v235, v26
	v_fma_f16 v26, v11, v26, -v29
	v_mul_f16_e32 v29, v20, v81
	s_delay_alu instid0(VALU_DEP_3) | instskip(SKIP_2) | instid1(VALU_DEP_2)
	v_fmac_f16_e32 v10, v11, v0
	v_lshrrev_b32_e32 v0, 16, v81
	v_lshrrev_b32_e32 v11, 16, v82
	v_mul_f16_e32 v83, v20, v0
	s_delay_alu instid0(VALU_DEP_2) | instskip(SKIP_2) | instid1(VALU_DEP_4)
	v_mul_f16_e32 v78, v20, v11
	v_lshrrev_b32_e32 v20, 16, v65
	v_fma_f16 v95, v66, v0, -v29
	v_fmac_f16_e32 v83, v66, v81
	s_delay_alu instid0(VALU_DEP_4) | instskip(NEXT) | instid1(VALU_DEP_4)
	v_fmac_f16_e32 v78, v66, v82
	v_mul_f16_e32 v84, v20, v34
	v_fma_f16 v66, v66, v11, -v32
	v_sub_f16_e32 v89, v87, v95
	v_sub_f16_e32 v68, v88, v83
	s_delay_alu instid0(VALU_DEP_4) | instskip(SKIP_1) | instid1(VALU_DEP_1)
	v_fmac_f16_e32 v84, v65, v1
	v_mul_f16_e32 v1, v20, v1
	v_fma_f16 v82, v65, v34, -v1
	ds_load_2addr_b32 v[0:1], v35 offset0:148 offset1:199
	v_sub_f16_e32 v96, v86, v82
	s_delay_alu instid0(VALU_DEP_1) | instskip(SKIP_3) | instid1(VALU_DEP_2)
	v_mul_f16_e32 v111, 0x3482, v96
	s_waitcnt lgkmcnt(0)
	v_lshrrev_b32_e32 v29, 16, v0
	v_mul_f16_e32 v34, v20, v0
	v_mul_f16_e32 v79, v20, v29
	s_delay_alu instid0(VALU_DEP_2) | instskip(SKIP_1) | instid1(VALU_DEP_3)
	v_fma_f16 v81, v65, v29, -v34
	v_mul_f16_e64 v29, v210, v1
	v_fmac_f16_e32 v79, v65, v0
	v_lshrrev_b32_e32 v0, 16, v1
	s_delay_alu instid0(VALU_DEP_1) | instskip(NEXT) | instid1(VALU_DEP_4)
	v_mul_f16_e64 v11, v210, v0
	v_fma_f16 v29, v202, v0, -v29
	ds_load_b32 v0, v207 offset:6528
	v_fmac_f16_e64 v11, v202, v1
	s_waitcnt lgkmcnt(0)
	v_lshrrev_b32_e32 v1, 16, v0
	v_mul_f16_e64 v34, v181, v0
	s_delay_alu instid0(VALU_DEP_2) | instskip(NEXT) | instid1(VALU_DEP_2)
	v_mul_f16_e64 v32, v181, v1
	v_fma_f16 v34, v203, v1, -v34
	s_delay_alu instid0(VALU_DEP_2)
	v_fmac_f16_e64 v32, v203, v0
	ds_load_2addr_b32 v[0:1], v207 offset1:51
	s_waitcnt lgkmcnt(0)
	s_barrier
	buffer_gl0_inv
	v_add_f16_e32 v65, v0, v88
	s_delay_alu instid0(VALU_DEP_1) | instskip(NEXT) | instid1(VALU_DEP_1)
	v_add_f16_e32 v65, v65, v85
	v_add_f16_e32 v65, v65, v91
	s_delay_alu instid0(VALU_DEP_1) | instskip(NEXT) | instid1(VALU_DEP_1)
	v_add_f16_e32 v65, v65, v99
	v_add_f16_e64 v65, v65, v143
	s_delay_alu instid0(VALU_DEP_1) | instskip(NEXT) | instid1(VALU_DEP_1)
	v_add_f16_e64 v65, v65, v142
	v_add_f16_e32 v65, v65, v101
	s_delay_alu instid0(VALU_DEP_1) | instskip(NEXT) | instid1(VALU_DEP_1)
	v_add_f16_e32 v65, v65, v92
	v_add_f16_e32 v67, v65, v84
	;; [unrolled: 1-line block ×4, first 2 shown]
	s_delay_alu instid0(VALU_DEP_3) | instskip(SKIP_1) | instid1(VALU_DEP_1)
	v_add_f16_e32 v94, v67, v83
	v_lshrrev_b32_e32 v67, 16, v0
	v_add_f16_e32 v83, v67, v87
	s_delay_alu instid0(VALU_DEP_1) | instskip(NEXT) | instid1(VALU_DEP_1)
	v_add_f16_e32 v83, v83, v86
	v_add_f16_e32 v83, v83, v90
	s_delay_alu instid0(VALU_DEP_1) | instskip(SKIP_2) | instid1(VALU_DEP_3)
	v_add_f16_e32 v83, v83, v98
	v_add_f16_e32 v98, v99, v101
	v_sub_f16_e32 v99, v99, v101
	v_add_f16_e64 v83, v83, v141
	v_add_f16_e64 v141, v143, v142
	v_sub_f16_e64 v142, v143, v142
	v_mul_f16_e64 v143, 0xb482, v147
	s_delay_alu instid0(VALU_DEP_4) | instskip(SKIP_1) | instid1(VALU_DEP_2)
	v_add_f16_e64 v83, v83, v144
	v_mul_f16_e64 v144, 0xbbad, v148
	v_add_f16_e32 v83, v83, v100
	v_mul_f16_e64 v100, 0xba0c, v145
	s_delay_alu instid0(VALU_DEP_2) | instskip(NEXT) | instid1(VALU_DEP_2)
	v_add_f16_e32 v83, v83, v93
	v_fmamk_f16 v101, v98, 0xb93d, v100
	s_delay_alu instid0(VALU_DEP_2) | instskip(NEXT) | instid1(VALU_DEP_1)
	v_add_f16_e32 v83, v83, v82
	v_add_f16_e32 v97, v83, v95
	;; [unrolled: 1-line block ×4, first 2 shown]
	v_sub_f16_e32 v83, v85, v84
	v_mul_f16_e32 v84, 0xb853, v89
	v_pack_b32_f16 v94, v94, v97
	v_mul_f16_e32 v108, 0xb93d, v95
	v_fmamk_f16 v112, v82, 0xbbad, v111
	v_mul_f16_e32 v114, 0xbbad, v95
	v_fmamk_f16 v85, v65, 0x3abb, v84
	s_delay_alu instid0(VALU_DEP_4) | instskip(SKIP_1) | instid1(VALU_DEP_4)
	v_fmamk_f16 v109, v83, 0x3a0c, v108
	v_fmac_f16_e32 v108, 0xba0c, v83
	v_fmamk_f16 v115, v83, 0xb482, v114
	s_delay_alu instid0(VALU_DEP_4) | instskip(SKIP_2) | instid1(VALU_DEP_2)
	v_add_f16_e32 v86, v0, v85
	v_mul_f16_e32 v85, 0xbb47, v96
	v_fmac_f16_e32 v114, 0x3482, v83
	v_fmamk_f16 v87, v82, 0x36a6, v85
	s_delay_alu instid0(VALU_DEP_1) | instskip(SKIP_1) | instid1(VALU_DEP_1)
	v_add_f16_e32 v105, v87, v86
	v_mul_f16_e32 v87, 0x3abb, v88
	v_fmamk_f16 v86, v68, 0x3853, v87
	v_fmac_f16_e32 v87, 0xb853, v68
	s_delay_alu instid0(VALU_DEP_2) | instskip(SKIP_1) | instid1(VALU_DEP_1)
	v_add_f16_e32 v102, v67, v86
	v_mul_f16_e32 v86, 0x36a6, v95
	v_fmamk_f16 v103, v83, 0x3b47, v86
	v_fmac_f16_e32 v86, 0xbb47, v83
	s_delay_alu instid0(VALU_DEP_2) | instskip(SKIP_4) | instid1(VALU_DEP_4)
	v_add_f16_e32 v106, v103, v102
	v_sub_f16_e32 v103, v90, v93
	v_add_f16_e32 v102, v90, v93
	v_add_f16_e32 v90, v91, v92
	v_sub_f16_e32 v91, v91, v92
	v_mul_f16_e32 v92, 0xbbeb, v103
	s_delay_alu instid0(VALU_DEP_1) | instskip(NEXT) | instid1(VALU_DEP_1)
	v_fmamk_f16 v93, v90, 0xb08e, v92
	v_add_f16_e32 v105, v93, v105
	v_mul_f16_e32 v93, 0xb08e, v102
	s_delay_alu instid0(VALU_DEP_2) | instskip(NEXT) | instid1(VALU_DEP_2)
	v_add_f16_e32 v105, v101, v105
	v_fmamk_f16 v107, v91, 0x3beb, v93
	v_mul_f16_e64 v101, 0xb93d, v146
	v_fmac_f16_e32 v93, 0xbbeb, v91
	s_delay_alu instid0(VALU_DEP_3) | instskip(NEXT) | instid1(VALU_DEP_3)
	v_add_f16_e32 v106, v107, v106
	v_fmamk_f16 v107, v99, 0x3a0c, v101
	v_fmac_f16_e32 v101, 0xba0c, v99
	s_delay_alu instid0(VALU_DEP_2) | instskip(SKIP_1) | instid1(VALU_DEP_1)
	v_add_f16_e32 v106, v107, v106
	v_fma_f16 v107, 0xbbad, v141, v143
	v_add_f16_e64 v149, v107, v105
	v_fma_f16 v105, 0x3482, v142, v144
	v_fmac_f16_e64 v144, 0xb482, v142
	s_delay_alu instid0(VALU_DEP_2) | instskip(SKIP_1) | instid1(VALU_DEP_2)
	v_add_f16_e64 v150, v105, v106
	v_mul_f16_e32 v105, 0xba0c, v96
	v_pack_b32_f16 v97, v149, v150
	s_delay_alu instid0(VALU_DEP_2)
	v_fmamk_f16 v106, v82, 0xb93d, v105
	v_mul_f16_e64 v149, 0xb08e, v95
	v_mul_f16_e32 v95, 0x3abb, v95
	ds_store_2addr_b32 v207, v94, v97 offset1:51
	v_mul_f16_e32 v94, 0xbb47, v89
	v_fma_f16 v150, 0xbbeb, v83, v149
	v_fma_f16 v152, 0xb853, v83, v95
	v_fmac_f16_e32 v95, 0x3853, v83
	v_fmac_f16_e64 v149, 0x3beb, v83
	v_fmamk_f16 v97, v65, 0x36a6, v94
	s_delay_alu instid0(VALU_DEP_1) | instskip(NEXT) | instid1(VALU_DEP_1)
	v_add_f16_e32 v97, v0, v97
	v_add_f16_e32 v97, v106, v97
	v_mul_f16_e32 v106, 0x36a6, v88
	s_delay_alu instid0(VALU_DEP_1) | instskip(SKIP_1) | instid1(VALU_DEP_2)
	v_fmamk_f16 v107, v68, 0x3b47, v106
	v_fmac_f16_e32 v106, 0xbb47, v68
	v_add_f16_e32 v107, v67, v107
	s_delay_alu instid0(VALU_DEP_1) | instskip(SKIP_1) | instid1(VALU_DEP_1)
	v_add_f16_e32 v107, v109, v107
	v_mul_f16_e32 v109, 0xbbeb, v89
	v_fmamk_f16 v110, v65, 0xb08e, v109
	s_delay_alu instid0(VALU_DEP_1) | instskip(NEXT) | instid1(VALU_DEP_1)
	v_add_f16_e32 v110, v0, v110
	v_add_f16_e32 v110, v112, v110
	v_mul_f16_e32 v112, 0xb08e, v88
	s_delay_alu instid0(VALU_DEP_1) | instskip(SKIP_1) | instid1(VALU_DEP_2)
	v_fmamk_f16 v113, v68, 0x3beb, v112
	v_fmac_f16_e32 v112, 0xbbeb, v68
	v_add_f16_e32 v113, v67, v113
	s_delay_alu instid0(VALU_DEP_1) | instskip(SKIP_1) | instid1(VALU_DEP_1)
	v_add_f16_e32 v113, v115, v113
	v_mul_f16_e32 v115, 0x3482, v103
	v_fmamk_f16 v118, v90, 0xbbad, v115
	s_delay_alu instid0(VALU_DEP_1) | instskip(SKIP_1) | instid1(VALU_DEP_1)
	v_add_f16_e32 v97, v118, v97
	v_mul_f16_e32 v118, 0xbbad, v102
	v_fmamk_f16 v119, v91, 0xb482, v118
	v_fmac_f16_e32 v118, 0x3482, v91
	s_delay_alu instid0(VALU_DEP_2) | instskip(SKIP_1) | instid1(VALU_DEP_1)
	v_add_f16_e32 v107, v119, v107
	v_mul_f16_e32 v119, 0x3b47, v103
	v_fmamk_f16 v122, v90, 0x36a6, v119
	s_delay_alu instid0(VALU_DEP_1) | instskip(SKIP_1) | instid1(VALU_DEP_1)
	v_add_f16_e32 v110, v122, v110
	v_mul_f16_e32 v122, 0x36a6, v102
	v_fmamk_f16 v123, v91, 0xbb47, v122
	v_fmac_f16_e32 v122, 0x3b47, v91
	s_delay_alu instid0(VALU_DEP_2) | instskip(SKIP_1) | instid1(VALU_DEP_1)
	v_add_f16_e32 v113, v123, v113
	v_mul_f16_e64 v123, 0x3beb, v145
	v_fmamk_f16 v126, v98, 0xb08e, v123
	s_delay_alu instid0(VALU_DEP_1) | instskip(SKIP_1) | instid1(VALU_DEP_1)
	v_add_f16_e32 v97, v126, v97
	v_mul_f16_e64 v126, 0xb08e, v146
	v_fmamk_f16 v127, v99, 0xbbeb, v126
	v_fmac_f16_e32 v126, 0x3beb, v99
	s_delay_alu instid0(VALU_DEP_2) | instskip(SKIP_1) | instid1(VALU_DEP_1)
	v_add_f16_e32 v107, v127, v107
	v_mul_f16_e64 v127, 0xb853, v145
	v_fma_f16 v130, 0x3abb, v98, v127
	s_delay_alu instid0(VALU_DEP_1) | instskip(SKIP_1) | instid1(VALU_DEP_1)
	v_add_f16_e64 v110, v130, v110
	v_mul_f16_e64 v130, 0x3abb, v146
	v_fma_f16 v131, 0x3853, v99, v130
	v_fmac_f16_e64 v130, 0xb853, v99
	s_delay_alu instid0(VALU_DEP_2) | instskip(SKIP_1) | instid1(VALU_DEP_1)
	v_add_f16_e64 v113, v131, v113
	v_mul_f16_e64 v131, 0x3853, v147
	v_fma_f16 v135, 0x3abb, v141, v131
	s_delay_alu instid0(VALU_DEP_1) | instskip(SKIP_1) | instid1(VALU_DEP_1)
	v_add_f16_e64 v97, v135, v97
	v_mul_f16_e64 v135, 0x3abb, v148
	v_fma_f16 v137, 0xb853, v142, v135
	v_fmac_f16_e64 v135, 0x3853, v142
	s_delay_alu instid0(VALU_DEP_2) | instskip(SKIP_1) | instid1(VALU_DEP_2)
	v_add_f16_e64 v107, v137, v107
	v_mul_f16_e64 v137, 0xba0c, v147
	v_pack_b32_f16 v97, v97, v107
	s_delay_alu instid0(VALU_DEP_2) | instskip(NEXT) | instid1(VALU_DEP_1)
	v_fma_f16 v139, 0xb93d, v141, v137
	v_add_f16_e64 v110, v139, v110
	v_mul_f16_e64 v139, 0xb93d, v148
	s_delay_alu instid0(VALU_DEP_1) | instskip(SKIP_1) | instid1(VALU_DEP_2)
	v_fma_f16 v140, 0x3a0c, v142, v139
	v_fmac_f16_e64 v139, 0xba0c, v142
	v_add_f16_e64 v113, v140, v113
	s_delay_alu instid0(VALU_DEP_1)
	v_pack_b32_f16 v107, v110, v113
	v_mul_f16_e32 v110, 0x3beb, v96
	v_mul_f16_e32 v96, 0x3853, v96
	ds_store_2addr_b32 v207, v97, v107 offset0:102 offset1:153
	v_mul_f16_e32 v97, 0xba0c, v89
	v_fmamk_f16 v113, v82, 0xb08e, v110
	v_mul_f16_e32 v89, 0xb482, v89
	v_fma_f16 v151, 0x3abb, v82, v96
	v_fma_f16 v96, v82, 0x3abb, -v96
	v_fmamk_f16 v107, v65, 0xb93d, v97
	v_fma_f16 v97, v65, 0xb93d, -v97
	s_delay_alu instid0(VALU_DEP_2) | instskip(NEXT) | instid1(VALU_DEP_2)
	v_add_f16_e32 v107, v0, v107
	v_add_f16_e32 v97, v0, v97
	s_delay_alu instid0(VALU_DEP_2) | instskip(SKIP_2) | instid1(VALU_DEP_2)
	v_add_f16_e32 v107, v113, v107
	v_mul_f16_e32 v113, 0xb93d, v88
	v_mul_f16_e32 v88, 0xbbad, v88
	v_fma_f16 v140, 0x3a0c, v68, v113
	v_fmac_f16_e32 v113, 0xba0c, v68
	s_delay_alu instid0(VALU_DEP_2) | instskip(NEXT) | instid1(VALU_DEP_1)
	v_add_f16_e64 v140, v67, v140
	v_add_f16_e64 v140, v150, v140
	v_fma_f16 v150, 0xbbad, v65, v89
	v_fma_f16 v89, v65, 0xbbad, -v89
	s_delay_alu instid0(VALU_DEP_2) | instskip(NEXT) | instid1(VALU_DEP_2)
	v_add_f16_e64 v150, v0, v150
	v_add_f16_e32 v89, v0, v89
	s_delay_alu instid0(VALU_DEP_2) | instskip(SKIP_2) | instid1(VALU_DEP_4)
	v_add_f16_e64 v150, v151, v150
	v_fma_f16 v151, 0x3482, v68, v88
	v_fmac_f16_e32 v88, 0xb482, v68
	v_add_f16_e32 v89, v96, v89
	v_fma_f16 v68, v82, 0x36a6, -v85
	s_delay_alu instid0(VALU_DEP_4) | instskip(NEXT) | instid1(VALU_DEP_4)
	v_add_f16_e64 v151, v67, v151
	v_add_f16_e32 v88, v67, v88
	s_delay_alu instid0(VALU_DEP_2) | instskip(SKIP_2) | instid1(VALU_DEP_4)
	v_add_f16_e64 v151, v152, v151
	v_mul_f16_e64 v152, 0xb853, v103
	v_mul_f16_e32 v103, 0xba0c, v103
	v_add_f16_e32 v88, v95, v88
	s_delay_alu instid0(VALU_DEP_3) | instskip(SKIP_1) | instid1(VALU_DEP_2)
	v_fma_f16 v153, 0x3abb, v90, v152
	v_fma_f16 v95, v90, 0x3abb, -v152
	v_add_f16_e64 v107, v153, v107
	v_mul_f16_e64 v153, 0x3abb, v102
	v_mul_f16_e32 v102, 0xb93d, v102
	s_delay_alu instid0(VALU_DEP_2) | instskip(SKIP_1) | instid1(VALU_DEP_2)
	v_fma_f16 v154, 0x3853, v91, v153
	v_fmac_f16_e64 v153, 0xb853, v91
	v_add_f16_e64 v140, v154, v140
	v_fma_f16 v154, 0xb93d, v90, v103
	s_delay_alu instid0(VALU_DEP_1) | instskip(SKIP_2) | instid1(VALU_DEP_2)
	v_add_f16_e64 v150, v154, v150
	v_fma_f16 v154, 0x3a0c, v91, v102
	v_fmac_f16_e32 v102, 0xba0c, v91
	v_add_f16_e64 v151, v154, v151
	v_mul_f16_e64 v154, 0xb482, v145
	v_mul_f16_e64 v145, 0x3b47, v145
	s_delay_alu instid0(VALU_DEP_4) | instskip(NEXT) | instid1(VALU_DEP_3)
	v_add_f16_e32 v88, v102, v88
	v_fma_f16 v155, 0xbbad, v98, v154
	s_delay_alu instid0(VALU_DEP_1) | instskip(SKIP_2) | instid1(VALU_DEP_2)
	v_add_f16_e64 v107, v155, v107
	v_mul_f16_e64 v155, 0xbbad, v146
	v_mul_f16_e64 v146, 0x36a6, v146
	v_fma_f16 v156, 0x3482, v99, v155
	v_fmac_f16_e64 v155, 0xb482, v99
	s_delay_alu instid0(VALU_DEP_2) | instskip(SKIP_1) | instid1(VALU_DEP_1)
	v_add_f16_e64 v140, v156, v140
	v_fma_f16 v156, 0x36a6, v98, v145
	v_add_f16_e64 v150, v156, v150
	v_fma_f16 v156, 0xbb47, v99, v146
	v_fmac_f16_e64 v146, 0x3b47, v99
	s_delay_alu instid0(VALU_DEP_2) | instskip(SKIP_2) | instid1(VALU_DEP_4)
	v_add_f16_e64 v151, v156, v151
	v_mul_f16_e64 v156, 0x3b47, v147
	v_mul_f16_e64 v147, 0xbbeb, v147
	v_add_f16_e64 v88, v146, v88
	s_delay_alu instid0(VALU_DEP_3) | instskip(NEXT) | instid1(VALU_DEP_1)
	v_fma_f16 v157, 0x36a6, v141, v156
	v_add_f16_e64 v107, v157, v107
	v_mul_f16_e64 v157, 0x36a6, v148
	v_mul_f16_e64 v148, 0xb08e, v148
	s_delay_alu instid0(VALU_DEP_2) | instskip(SKIP_1) | instid1(VALU_DEP_2)
	v_fma_f16 v159, 0xbb47, v142, v157
	v_fmac_f16_e64 v157, 0x3b47, v142
	v_add_f16_e64 v140, v159, v140
	v_fma_f16 v159, 0xb08e, v141, v147
	s_delay_alu instid0(VALU_DEP_2) | instskip(NEXT) | instid1(VALU_DEP_2)
	v_pack_b32_f16 v107, v107, v140
	v_add_f16_e64 v150, v159, v150
	v_fma_f16 v159, 0x3beb, v142, v148
	v_fmac_f16_e64 v148, 0xbbeb, v142
	s_delay_alu instid0(VALU_DEP_2) | instskip(NEXT) | instid1(VALU_DEP_2)
	v_add_f16_e64 v151, v159, v151
	v_add_f16_e64 v88, v148, v88
	s_delay_alu instid0(VALU_DEP_2) | instskip(SKIP_2) | instid1(VALU_DEP_1)
	v_pack_b32_f16 v140, v150, v151
	ds_store_2addr_b32 v207, v107, v140 offset0:204 offset1:255
	v_fma_f16 v107, v82, 0xb08e, -v110
	v_add_f16_e32 v97, v107, v97
	v_add_f16_e32 v107, v67, v113
	s_delay_alu instid0(VALU_DEP_2) | instskip(SKIP_1) | instid1(VALU_DEP_3)
	v_add_f16_e32 v95, v95, v97
	v_fma_f16 v97, v90, 0xb93d, -v103
	v_add_f16_e64 v107, v149, v107
	s_delay_alu instid0(VALU_DEP_2) | instskip(SKIP_1) | instid1(VALU_DEP_3)
	v_add_f16_e32 v89, v97, v89
	v_fma_f16 v97, v98, 0xbbad, -v154
	v_add_f16_e64 v96, v153, v107
	;; [unrolled: 4-line block ×4, first 2 shown]
	s_delay_alu instid0(VALU_DEP_2) | instskip(SKIP_1) | instid1(VALU_DEP_1)
	v_add_f16_e32 v95, v97, v95
	v_fma_f16 v97, v141, 0xb08e, -v147
	v_add_f16_e32 v89, v97, v89
	s_delay_alu instid0(VALU_DEP_1) | instskip(NEXT) | instid1(VALU_DEP_4)
	v_pack_b32_f16 v88, v89, v88
	v_pack_b32_f16 v89, v95, v96
	v_fma_f16 v95, v82, 0xbbad, -v111
	v_fma_f16 v96, v90, 0xbbad, -v115
	ds_store_2addr_b32 v23, v88, v89 offset0:50 offset1:101
	v_fma_f16 v88, v65, 0x36a6, -v94
	v_fma_f16 v89, v82, 0xb93d, -v105
	;; [unrolled: 1-line block ×4, first 2 shown]
	s_delay_alu instid0(VALU_DEP_4) | instskip(NEXT) | instid1(VALU_DEP_3)
	v_add_f16_e32 v88, v0, v88
	v_add_f16_e32 v94, v0, v94
	s_delay_alu instid0(VALU_DEP_3) | instskip(NEXT) | instid1(VALU_DEP_3)
	v_add_f16_e32 v0, v0, v65
	v_add_f16_e32 v88, v89, v88
	;; [unrolled: 1-line block ×3, first 2 shown]
	s_delay_alu instid0(VALU_DEP_4)
	v_add_f16_e32 v94, v95, v94
	v_add_f16_e32 v95, v67, v112
	;; [unrolled: 1-line block ×4, first 2 shown]
	v_fma_f16 v96, v90, 0x36a6, -v119
	v_add_f16_e32 v89, v108, v89
	v_add_f16_e32 v95, v114, v95
	;; [unrolled: 1-line block ×5, first 2 shown]
	v_fma_f16 v96, v98, 0xb08e, -v123
	v_fma_f16 v67, v90, 0xb08e, -v92
	v_add_f16_e32 v89, v118, v89
	v_add_f16_e32 v95, v122, v95
	;; [unrolled: 1-line block ×4, first 2 shown]
	v_fma_f16 v96, v98, 0x3abb, -v127
	v_add_f16_e32 v0, v67, v0
	v_fma_f16 v67, v98, 0xb93d, -v100
	v_add_f16_e32 v89, v126, v89
	v_add_f16_e64 v95, v130, v95
	v_add_f16_e32 v94, v96, v94
	v_fma_f16 v96, v141, 0x3abb, -v131
	v_add_f16_e32 v0, v67, v0
	v_fma_f16 v67, v141, 0xbbad, -v143
	v_add_f16_e64 v95, v139, v95
	v_add_f16_e64 v89, v135, v89
	v_add_f16_e32 v88, v96, v88
	v_fma_f16 v96, v141, 0xb93d, -v137
	v_add_f16_e32 v0, v67, v0
	v_sub_f16_e32 v67, v42, v66
	v_add_f16_e32 v68, v38, v78
	v_pack_b32_f16 v88, v88, v89
	v_add_f16_e32 v94, v96, v94
	v_add_f16_e32 v65, v101, v65
	v_mul_f16_e32 v82, 0xb853, v67
	v_mul_f16_e32 v84, 0xbb47, v67
	;; [unrolled: 1-line block ×3, first 2 shown]
	v_pack_b32_f16 v94, v94, v95
	v_mul_f16_e32 v87, 0xba0c, v67
	v_mul_f16_e32 v67, 0xb482, v67
	v_fmamk_f16 v83, v68, 0x3abb, v82
	v_fma_f16 v82, v68, 0x3abb, -v82
	ds_store_2addr_b32 v23, v94, v88 offset0:152 offset1:203
	v_fmamk_f16 v85, v68, 0x36a6, v84
	v_fma_f16 v84, v68, 0x36a6, -v84
	v_fmamk_f16 v88, v68, 0xb08e, v86
	v_fma_f16 v86, v68, 0xb08e, -v86
	;; [unrolled: 2-line block ×4, first 2 shown]
	v_add_f16_e64 v65, v144, v65
	v_add_f16_e32 v68, v1, v83
	v_add_f16_e32 v82, v1, v82
	;; [unrolled: 1-line block ×11, first 2 shown]
	v_lshrrev_b32_e32 v1, 16, v1
	v_pack_b32_f16 v0, v0, v65
	v_sub_f16_e32 v38, v38, v78
	s_delay_alu instid0(VALU_DEP_4) | instskip(NEXT) | instid1(VALU_DEP_4)
	v_add_f16_e32 v65, v90, v30
	v_add_f16_e32 v90, v1, v42
	s_delay_alu instid0(VALU_DEP_2) | instskip(NEXT) | instid1(VALU_DEP_2)
	v_add_f16_e32 v65, v65, v36
	v_add_f16_e32 v90, v90, v41
	s_delay_alu instid0(VALU_DEP_2) | instskip(NEXT) | instid1(VALU_DEP_2)
	;; [unrolled: 3-line block ×8, first 2 shown]
	v_add_f16_e32 v65, v65, v78
	v_add_f16_e32 v90, v90, v81
	s_delay_alu instid0(VALU_DEP_1) | instskip(NEXT) | instid1(VALU_DEP_1)
	v_add_f16_e32 v90, v90, v66
	v_pack_b32_f16 v65, v65, v90
	ds_store_2addr_b32 v25, v0, v65 offset0:126 offset1:177
	v_add_f16_e32 v0, v42, v66
	v_sub_f16_e32 v42, v41, v81
	v_add_f16_e32 v65, v30, v79
	v_add_f16_e32 v41, v41, v81
	v_sub_f16_e32 v30, v30, v79
	s_delay_alu instid0(VALU_DEP_4) | instskip(NEXT) | instid1(VALU_DEP_3)
	v_mul_f16_e32 v66, 0xbb47, v42
	v_mul_f16_e32 v81, 0x36a6, v41
	;; [unrolled: 1-line block ×4, first 2 shown]
	s_delay_alu instid0(VALU_DEP_4) | instskip(NEXT) | instid1(VALU_DEP_4)
	v_fmamk_f16 v78, v65, 0x36a6, v66
	v_fmamk_f16 v90, v30, 0x3b47, v81
	s_delay_alu instid0(VALU_DEP_4) | instskip(NEXT) | instid1(VALU_DEP_4)
	v_fmamk_f16 v94, v30, 0x3a0c, v93
	v_fmamk_f16 v111, v30, 0xbbeb, v110
	s_delay_alu instid0(VALU_DEP_4) | instskip(SKIP_4) | instid1(VALU_DEP_4)
	v_add_f16_e32 v68, v78, v68
	v_mul_f16_e32 v78, 0x3abb, v0
	v_fmac_f16_e32 v110, 0x3beb, v30
	v_fmac_f16_e32 v81, 0xbb47, v30
	;; [unrolled: 1-line block ×3, first 2 shown]
	v_fmamk_f16 v79, v38, 0x3853, v78
	v_fmac_f16_e32 v78, 0xb853, v38
	s_delay_alu instid0(VALU_DEP_2) | instskip(NEXT) | instid1(VALU_DEP_1)
	v_add_f16_e32 v79, v1, v79
	v_add_f16_e32 v79, v90, v79
	v_mul_f16_e32 v90, 0xba0c, v42
	s_delay_alu instid0(VALU_DEP_1) | instskip(NEXT) | instid1(VALU_DEP_1)
	v_fmamk_f16 v91, v65, 0xb93d, v90
	v_add_f16_e32 v83, v91, v83
	v_mul_f16_e32 v91, 0x36a6, v0
	s_delay_alu instid0(VALU_DEP_1) | instskip(SKIP_1) | instid1(VALU_DEP_2)
	v_fmamk_f16 v92, v38, 0x3b47, v91
	v_fmac_f16_e32 v91, 0xbb47, v38
	v_add_f16_e32 v92, v1, v92
	s_delay_alu instid0(VALU_DEP_1) | instskip(SKIP_4) | instid1(VALU_DEP_4)
	v_add_f16_e32 v92, v94, v92
	v_sub_f16_e32 v94, v37, v77
	v_add_f16_e32 v37, v37, v77
	v_add_f16_e32 v77, v36, v74
	v_sub_f16_e32 v36, v36, v74
	v_mul_f16_e32 v74, 0xbbeb, v94
	s_delay_alu instid0(VALU_DEP_1) | instskip(NEXT) | instid1(VALU_DEP_1)
	v_fmamk_f16 v95, v77, 0xb08e, v74
	v_add_f16_e32 v68, v95, v68
	v_mul_f16_e32 v95, 0xb08e, v37
	s_delay_alu instid0(VALU_DEP_1) | instskip(SKIP_1) | instid1(VALU_DEP_2)
	v_fmamk_f16 v96, v36, 0x3beb, v95
	v_fmac_f16_e32 v95, 0xbbeb, v36
	v_add_f16_e32 v79, v96, v79
	v_mul_f16_e32 v96, 0x3482, v94
	s_delay_alu instid0(VALU_DEP_1) | instskip(NEXT) | instid1(VALU_DEP_1)
	v_fmamk_f16 v97, v77, 0xbbad, v96
	v_add_f16_e32 v83, v97, v83
	v_mul_f16_e32 v97, 0xbbad, v37
	s_delay_alu instid0(VALU_DEP_1) | instskip(SKIP_1) | instid1(VALU_DEP_2)
	v_fmamk_f16 v98, v36, 0xb482, v97
	v_fmac_f16_e32 v97, 0x3482, v36
	v_add_f16_e32 v92, v98, v92
	v_sub_f16_e32 v98, v33, v76
	v_add_f16_e32 v33, v33, v76
	v_add_f16_e32 v76, v28, v75
	v_sub_f16_e32 v28, v28, v75
	s_delay_alu instid0(VALU_DEP_4) | instskip(NEXT) | instid1(VALU_DEP_1)
	v_mul_f16_e32 v75, 0xba0c, v98
	v_fmamk_f16 v99, v76, 0xb93d, v75
	s_delay_alu instid0(VALU_DEP_1) | instskip(SKIP_1) | instid1(VALU_DEP_1)
	v_add_f16_e32 v68, v99, v68
	v_mul_f16_e32 v99, 0xb93d, v33
	v_fmamk_f16 v100, v28, 0x3a0c, v99
	v_fmac_f16_e32 v99, 0xba0c, v28
	s_delay_alu instid0(VALU_DEP_2) | instskip(SKIP_1) | instid1(VALU_DEP_1)
	v_add_f16_e32 v79, v100, v79
	v_mul_f16_e32 v100, 0x3beb, v98
	v_fmamk_f16 v101, v76, 0xb08e, v100
	s_delay_alu instid0(VALU_DEP_1) | instskip(SKIP_1) | instid1(VALU_DEP_1)
	v_add_f16_e32 v83, v101, v83
	v_mul_f16_e32 v101, 0xb08e, v33
	v_fmamk_f16 v102, v28, 0xbbeb, v101
	v_fmac_f16_e32 v101, 0x3beb, v28
	s_delay_alu instid0(VALU_DEP_2) | instskip(SKIP_4) | instid1(VALU_DEP_4)
	v_add_f16_e32 v92, v102, v92
	v_sub_f16_e32 v102, v72, v73
	v_add_f16_e32 v72, v72, v73
	v_add_f16_e32 v73, v71, v70
	v_sub_f16_e32 v70, v71, v70
	v_mul_f16_e32 v71, 0xb482, v102
	s_delay_alu instid0(VALU_DEP_1) | instskip(NEXT) | instid1(VALU_DEP_1)
	v_fmamk_f16 v103, v73, 0xbbad, v71
	v_add_f16_e32 v68, v103, v68
	v_mul_f16_e32 v103, 0xbbad, v72
	s_delay_alu instid0(VALU_DEP_1) | instskip(SKIP_1) | instid1(VALU_DEP_2)
	v_fmamk_f16 v105, v70, 0x3482, v103
	v_fmac_f16_e32 v103, 0xb482, v70
	v_add_f16_e32 v79, v105, v79
	v_mul_f16_e32 v105, 0x3853, v102
	s_delay_alu instid0(VALU_DEP_2) | instskip(NEXT) | instid1(VALU_DEP_2)
	v_pack_b32_f16 v68, v68, v79
	v_fmamk_f16 v106, v73, 0x3abb, v105
	s_delay_alu instid0(VALU_DEP_1) | instskip(SKIP_1) | instid1(VALU_DEP_1)
	v_add_f16_e32 v83, v106, v83
	v_mul_f16_e32 v106, 0x3abb, v72
	v_fmamk_f16 v107, v70, 0xb853, v106
	v_fmac_f16_e32 v106, 0x3853, v70
	s_delay_alu instid0(VALU_DEP_2) | instskip(NEXT) | instid1(VALU_DEP_1)
	v_add_f16_e32 v92, v107, v92
	v_pack_b32_f16 v79, v83, v92
	v_mul_f16_e32 v83, 0xb08e, v0
	v_mul_f16_e32 v92, 0xbbad, v41
	;; [unrolled: 1-line block ×3, first 2 shown]
	ds_store_2addr_b32 v31, v68, v79 offset0:100 offset1:151
	v_mul_f16_e32 v68, 0x3482, v42
	v_fmamk_f16 v107, v30, 0xb482, v92
	v_fmac_f16_e32 v92, 0x3482, v30
	s_delay_alu instid0(VALU_DEP_3) | instskip(NEXT) | instid1(VALU_DEP_1)
	v_fmamk_f16 v79, v65, 0xbbad, v68
	v_add_f16_e32 v79, v79, v85
	v_fmamk_f16 v85, v38, 0x3beb, v83
	v_fmac_f16_e32 v83, 0xbbeb, v38
	s_delay_alu instid0(VALU_DEP_2) | instskip(NEXT) | instid1(VALU_DEP_1)
	v_add_f16_e32 v85, v1, v85
	v_add_f16_e32 v85, v107, v85
	v_mul_f16_e32 v107, 0x3beb, v42
	v_mul_f16_e32 v42, 0x3853, v42
	s_delay_alu instid0(VALU_DEP_2) | instskip(NEXT) | instid1(VALU_DEP_1)
	v_fmamk_f16 v108, v65, 0xb08e, v107
	v_add_f16_e32 v88, v108, v88
	v_mul_f16_e32 v108, 0xb93d, v0
	v_mul_f16_e32 v0, 0xbbad, v0
	s_delay_alu instid0(VALU_DEP_2) | instskip(SKIP_1) | instid1(VALU_DEP_2)
	v_fmamk_f16 v109, v38, 0x3a0c, v108
	v_fmac_f16_e32 v108, 0xba0c, v38
	v_add_f16_e32 v109, v1, v109
	s_delay_alu instid0(VALU_DEP_1) | instskip(SKIP_1) | instid1(VALU_DEP_1)
	v_add_f16_e32 v109, v111, v109
	v_mul_f16_e32 v111, 0x3b47, v94
	v_fmamk_f16 v112, v77, 0x36a6, v111
	s_delay_alu instid0(VALU_DEP_1) | instskip(SKIP_1) | instid1(VALU_DEP_1)
	v_add_f16_e32 v79, v112, v79
	v_mul_f16_e32 v112, 0x36a6, v37
	v_fmamk_f16 v113, v36, 0xbb47, v112
	v_fmac_f16_e32 v112, 0x3b47, v36
	s_delay_alu instid0(VALU_DEP_2) | instskip(SKIP_1) | instid1(VALU_DEP_1)
	v_add_f16_e32 v85, v113, v85
	v_mul_f16_e32 v113, 0xb853, v94
	v_fmamk_f16 v114, v77, 0x3abb, v113
	s_delay_alu instid0(VALU_DEP_1) | instskip(SKIP_2) | instid1(VALU_DEP_2)
	v_add_f16_e32 v88, v114, v88
	v_mul_f16_e32 v114, 0x3abb, v37
	v_mul_f16_e32 v37, 0xb93d, v37
	v_fmamk_f16 v115, v36, 0x3853, v114
	v_fmac_f16_e32 v114, 0xb853, v36
	s_delay_alu instid0(VALU_DEP_2) | instskip(SKIP_1) | instid1(VALU_DEP_1)
	v_add_f16_e32 v109, v115, v109
	v_mul_f16_e32 v115, 0xb853, v98
	v_fmamk_f16 v118, v76, 0x3abb, v115
	s_delay_alu instid0(VALU_DEP_1) | instskip(SKIP_1) | instid1(VALU_DEP_1)
	v_add_f16_e32 v79, v118, v79
	v_mul_f16_e32 v118, 0x3abb, v33
	v_fmamk_f16 v119, v28, 0x3853, v118
	v_fmac_f16_e32 v118, 0xb853, v28
	s_delay_alu instid0(VALU_DEP_2) | instskip(SKIP_1) | instid1(VALU_DEP_1)
	v_add_f16_e32 v85, v119, v85
	v_mul_f16_e32 v119, 0xb482, v98
	v_fmamk_f16 v122, v76, 0xbbad, v119
	s_delay_alu instid0(VALU_DEP_1) | instskip(SKIP_2) | instid1(VALU_DEP_2)
	v_add_f16_e32 v88, v122, v88
	v_mul_f16_e32 v122, 0xbbad, v33
	v_mul_f16_e32 v33, 0x36a6, v33
	v_fmamk_f16 v123, v28, 0x3482, v122
	v_fmac_f16_e32 v122, 0xb482, v28
	s_delay_alu instid0(VALU_DEP_2) | instskip(SKIP_1) | instid1(VALU_DEP_1)
	v_add_f16_e32 v109, v123, v109
	v_mul_f16_e32 v123, 0xba0c, v102
	v_fmamk_f16 v126, v73, 0xb93d, v123
	s_delay_alu instid0(VALU_DEP_1) | instskip(SKIP_1) | instid1(VALU_DEP_1)
	v_add_f16_e32 v79, v126, v79
	v_mul_f16_e32 v126, 0xb93d, v72
	v_fmamk_f16 v127, v70, 0x3a0c, v126
	v_fmac_f16_e32 v126, 0xba0c, v70
	s_delay_alu instid0(VALU_DEP_2) | instskip(SKIP_1) | instid1(VALU_DEP_2)
	v_add_f16_e32 v85, v127, v85
	v_mul_f16_e32 v127, 0x3b47, v102
	v_pack_b32_f16 v79, v79, v85
	s_delay_alu instid0(VALU_DEP_2) | instskip(NEXT) | instid1(VALU_DEP_1)
	v_fma_f16 v130, 0x36a6, v73, v127
	v_add_f16_e64 v88, v130, v88
	v_mul_f16_e64 v130, 0x36a6, v72
	s_delay_alu instid0(VALU_DEP_1) | instskip(SKIP_1) | instid1(VALU_DEP_2)
	v_fma_f16 v131, 0xbb47, v70, v130
	v_fmac_f16_e64 v130, 0x3b47, v70
	v_add_f16_e64 v109, v131, v109
	s_delay_alu instid0(VALU_DEP_1)
	v_pack_b32_f16 v85, v88, v109
	v_fmamk_f16 v88, v30, 0xb853, v41
	v_fmac_f16_e32 v41, 0x3853, v30
	ds_store_2addr_b32 v31, v79, v85 offset0:202 offset1:253
	v_fmamk_f16 v85, v38, 0x3482, v0
	v_fmac_f16_e32 v0, 0xb482, v38
	v_fmamk_f16 v79, v65, 0x3abb, v42
	v_fma_f16 v42, v65, 0x3abb, -v42
	v_fma_f16 v38, v77, 0xbbad, -v96
	v_add_f16_e32 v85, v1, v85
	v_add_f16_e32 v0, v1, v0
	;; [unrolled: 1-line block ×4, first 2 shown]
	s_delay_alu instid0(VALU_DEP_4) | instskip(NEXT) | instid1(VALU_DEP_4)
	v_add_f16_e32 v85, v88, v85
	v_add_f16_e32 v0, v41, v0
	v_mul_f16_e32 v41, 0xba0c, v94
	s_delay_alu instid0(VALU_DEP_1) | instskip(SKIP_1) | instid1(VALU_DEP_2)
	v_fmamk_f16 v67, v77, 0xb93d, v41
	v_fma_f16 v41, v77, 0xb93d, -v41
	v_add_f16_e32 v67, v67, v79
	v_fmamk_f16 v79, v36, 0x3a0c, v37
	v_fmac_f16_e32 v37, 0xba0c, v36
	s_delay_alu instid0(VALU_DEP_4) | instskip(SKIP_1) | instid1(VALU_DEP_4)
	v_add_f16_e32 v41, v41, v42
	v_fma_f16 v36, v76, 0xb93d, -v75
	v_add_f16_e32 v79, v79, v85
	s_delay_alu instid0(VALU_DEP_4) | instskip(SKIP_1) | instid1(VALU_DEP_1)
	v_add_f16_e32 v0, v37, v0
	v_mul_f16_e32 v37, 0x3b47, v98
	v_fmamk_f16 v42, v76, 0x36a6, v37
	v_fma_f16 v37, v76, 0x36a6, -v37
	s_delay_alu instid0(VALU_DEP_2) | instskip(SKIP_2) | instid1(VALU_DEP_4)
	v_add_f16_e32 v42, v42, v67
	v_fmamk_f16 v67, v28, 0xbb47, v33
	v_fmac_f16_e32 v33, 0x3b47, v28
	v_add_f16_e32 v37, v37, v41
	s_delay_alu instid0(VALU_DEP_3) | instskip(NEXT) | instid1(VALU_DEP_3)
	v_add_f16_e32 v67, v67, v79
	v_add_f16_e32 v0, v33, v0
	v_mul_f16_e32 v33, 0xbbeb, v102
	s_delay_alu instid0(VALU_DEP_1) | instskip(SKIP_1) | instid1(VALU_DEP_2)
	v_fmamk_f16 v41, v73, 0xb08e, v33
	v_fma_f16 v33, v73, 0xb08e, -v33
	v_add_f16_e32 v41, v41, v42
	v_mul_f16_e32 v42, 0xb08e, v72
	s_delay_alu instid0(VALU_DEP_3) | instskip(NEXT) | instid1(VALU_DEP_2)
	v_add_f16_e32 v33, v33, v37
	v_fmamk_f16 v72, v70, 0x3beb, v42
	v_fmac_f16_e32 v42, 0xbbeb, v70
	s_delay_alu instid0(VALU_DEP_2) | instskip(NEXT) | instid1(VALU_DEP_2)
	v_add_f16_e32 v67, v72, v67
	v_add_f16_e32 v0, v42, v0
	v_fma_f16 v42, v77, 0x36a6, -v111
	s_delay_alu instid0(VALU_DEP_3) | instskip(NEXT) | instid1(VALU_DEP_3)
	v_pack_b32_f16 v37, v41, v67
	v_pack_b32_f16 v0, v33, v0
	v_add_f16_e32 v33, v1, v83
	v_add_f16_e32 v41, v1, v108
	ds_store_2addr_b32 v40, v37, v0 offset0:48 offset1:99
	v_fma_f16 v0, v65, 0xbbad, -v68
	v_fma_f16 v37, v65, 0xb08e, -v107
	v_add_f16_e32 v33, v92, v33
	v_add_f16_e32 v41, v110, v41
	s_delay_alu instid0(VALU_DEP_4) | instskip(NEXT) | instid1(VALU_DEP_4)
	v_add_f16_e32 v0, v0, v86
	v_add_f16_e32 v37, v37, v87
	s_delay_alu instid0(VALU_DEP_4) | instskip(NEXT) | instid1(VALU_DEP_4)
	v_add_f16_e32 v33, v112, v33
	v_add_f16_e32 v41, v114, v41
	s_delay_alu instid0(VALU_DEP_4) | instskip(SKIP_1) | instid1(VALU_DEP_4)
	v_add_f16_e32 v0, v42, v0
	v_fma_f16 v42, v77, 0x3abb, -v113
	v_add_f16_e32 v33, v118, v33
	s_delay_alu instid0(VALU_DEP_4) | instskip(NEXT) | instid1(VALU_DEP_3)
	v_add_f16_e32 v41, v122, v41
	v_add_f16_e32 v37, v42, v37
	v_fma_f16 v42, v76, 0x3abb, -v115
	s_delay_alu instid0(VALU_DEP_3) | instskip(SKIP_1) | instid1(VALU_DEP_3)
	v_add_f16_e64 v41, v130, v41
	v_add_f16_e32 v33, v126, v33
	v_add_f16_e32 v0, v42, v0
	v_fma_f16 v42, v76, 0xbbad, -v119
	s_delay_alu instid0(VALU_DEP_1) | instskip(SKIP_1) | instid1(VALU_DEP_1)
	v_add_f16_e32 v37, v42, v37
	v_fma_f16 v42, v73, 0xb93d, -v123
	v_add_f16_e32 v0, v42, v0
	v_fma_f16 v42, v73, 0x36a6, -v127
	s_delay_alu instid0(VALU_DEP_2) | instskip(NEXT) | instid1(VALU_DEP_2)
	v_pack_b32_f16 v0, v0, v33
	v_add_f16_e32 v37, v42, v37
	v_fma_f16 v33, v65, 0x36a6, -v66
	s_delay_alu instid0(VALU_DEP_2) | instskip(NEXT) | instid1(VALU_DEP_2)
	v_pack_b32_f16 v37, v37, v41
	v_add_f16_e32 v30, v33, v82
	ds_store_2addr_b32 v40, v37, v0 offset0:150 offset1:201
	v_add_f16_e32 v0, v1, v78
	v_add_f16_e32 v1, v1, v91
	v_fma_f16 v37, v65, 0xb93d, -v90
	s_delay_alu instid0(VALU_DEP_3) | instskip(NEXT) | instid1(VALU_DEP_3)
	v_add_f16_e32 v0, v81, v0
	v_add_f16_e32 v1, v93, v1
	s_delay_alu instid0(VALU_DEP_3) | instskip(SKIP_1) | instid1(VALU_DEP_4)
	v_add_f16_e32 v33, v37, v84
	v_fma_f16 v37, v77, 0xb08e, -v74
	v_add_f16_e32 v0, v95, v0
	s_delay_alu instid0(VALU_DEP_4) | instskip(NEXT) | instid1(VALU_DEP_4)
	v_add_f16_e32 v1, v97, v1
	v_add_f16_e32 v33, v38, v33
	s_delay_alu instid0(VALU_DEP_4) | instskip(SKIP_3) | instid1(VALU_DEP_4)
	v_add_f16_e32 v30, v37, v30
	v_fma_f16 v37, v76, 0xb08e, -v100
	v_add_f16_e32 v0, v99, v0
	v_add_f16_e32 v1, v101, v1
	;; [unrolled: 1-line block ×3, first 2 shown]
	s_delay_alu instid0(VALU_DEP_4) | instskip(SKIP_4) | instid1(VALU_DEP_4)
	v_add_f16_e32 v30, v37, v33
	v_fma_f16 v33, v73, 0xbbad, -v71
	v_fma_f16 v36, v73, 0x3abb, -v105
	v_add_f16_e32 v1, v106, v1
	v_add_f16_e32 v0, v103, v0
	;; [unrolled: 1-line block ×3, first 2 shown]
	s_delay_alu instid0(VALU_DEP_4) | instskip(SKIP_1) | instid1(VALU_DEP_3)
	v_add_f16_e32 v30, v36, v30
	v_sub_f16_e32 v33, v15, v29
	v_pack_b32_f16 v0, v28, v0
	s_delay_alu instid0(VALU_DEP_3) | instskip(SKIP_1) | instid1(VALU_DEP_4)
	v_pack_b32_f16 v1, v30, v1
	v_lshrrev_b32_e32 v28, 16, v21
	v_mul_f16_e32 v36, 0xbb47, v33
	v_mul_f16_e32 v76, 0x3482, v33
	ds_store_2addr_b32 v69, v1, v0 offset0:124 offset1:175
	v_add_f16_e32 v0, v21, v14
	v_add_f16_e32 v30, v28, v22
	;; [unrolled: 1-line block ×3, first 2 shown]
	v_sub_f16_e32 v14, v14, v32
	s_delay_alu instid0(VALU_DEP_4) | instskip(NEXT) | instid1(VALU_DEP_4)
	v_add_f16_e32 v0, v0, v13
	v_add_f16_e32 v30, v30, v15
	;; [unrolled: 1-line block ×3, first 2 shown]
	s_delay_alu instid0(VALU_DEP_3) | instskip(NEXT) | instid1(VALU_DEP_3)
	v_add_f16_e32 v0, v0, v12
	v_add_f16_e32 v30, v30, v6
	s_delay_alu instid0(VALU_DEP_3) | instskip(SKIP_4) | instid1(VALU_DEP_2)
	v_mul_f16_e32 v41, 0x36a6, v15
	v_mul_f16_e32 v73, 0xb93d, v15
	;; [unrolled: 1-line block ×3, first 2 shown]
	v_add_f16_e32 v0, v0, v4
	v_add_f16_e32 v30, v30, v5
	;; [unrolled: 1-line block ×3, first 2 shown]
	s_delay_alu instid0(VALU_DEP_2) | instskip(NEXT) | instid1(VALU_DEP_2)
	v_add_f16_e32 v30, v30, v7
	v_add_f16_e32 v0, v0, v3
	s_delay_alu instid0(VALU_DEP_2) | instskip(NEXT) | instid1(VALU_DEP_2)
	v_add_f16_e32 v30, v30, v8
	v_add_f16_e32 v0, v0, v24
	;; [unrolled: 3-line block ×4, first 2 shown]
	s_delay_alu instid0(VALU_DEP_2) | instskip(SKIP_2) | instid1(VALU_DEP_4)
	v_add_f16_e32 v30, v30, v29
	v_add_f16_e32 v29, v13, v11
	v_sub_f16_e32 v11, v13, v11
	v_add_f16_e32 v0, v0, v32
	v_sub_f16_e32 v32, v22, v34
	v_add_f16_e32 v22, v22, v34
	v_add_f16_e32 v30, v30, v34
	v_fmamk_f16 v37, v29, 0x36a6, v36
	v_fmamk_f16 v42, v11, 0x3b47, v41
	v_mul_f16_e32 v13, 0xb853, v32
	v_fmamk_f16 v74, v11, 0x3a0c, v73
	v_pack_b32_f16 v0, v0, v30
	v_fmamk_f16 v77, v29, 0xbbad, v76
	v_fmamk_f16 v81, v11, 0xb482, v79
	;; [unrolled: 1-line block ×3, first 2 shown]
	v_fmac_f16_e32 v73, 0xba0c, v11
	v_fmac_f16_e32 v79, 0x3482, v11
	;; [unrolled: 1-line block ×3, first 2 shown]
	s_delay_alu instid0(VALU_DEP_4) | instskip(NEXT) | instid1(VALU_DEP_1)
	v_add_f16_e32 v34, v21, v34
	v_add_f16_e32 v34, v37, v34
	v_mul_f16_e32 v37, 0x3abb, v22
	s_delay_alu instid0(VALU_DEP_1) | instskip(SKIP_1) | instid1(VALU_DEP_2)
	v_fmamk_f16 v38, v14, 0x3853, v37
	v_fmac_f16_e32 v37, 0xb853, v14
	v_add_f16_e32 v38, v28, v38
	s_delay_alu instid0(VALU_DEP_1) | instskip(SKIP_4) | instid1(VALU_DEP_4)
	v_add_f16_e32 v38, v42, v38
	v_sub_f16_e32 v42, v6, v26
	v_add_f16_e32 v6, v6, v26
	v_add_f16_e32 v26, v12, v10
	v_sub_f16_e32 v10, v12, v10
	v_mul_f16_e32 v12, 0xbbeb, v42
	s_delay_alu instid0(VALU_DEP_1) | instskip(NEXT) | instid1(VALU_DEP_1)
	v_fmamk_f16 v65, v26, 0xb08e, v12
	v_add_f16_e32 v34, v65, v34
	v_mul_f16_e32 v65, 0xb08e, v6
	s_delay_alu instid0(VALU_DEP_1) | instskip(SKIP_1) | instid1(VALU_DEP_2)
	v_fmamk_f16 v66, v10, 0x3beb, v65
	v_fmac_f16_e32 v65, 0xbbeb, v10
	v_add_f16_e32 v38, v66, v38
	v_sub_f16_e32 v66, v5, v9
	v_add_f16_e32 v5, v5, v9
	v_add_f16_e32 v9, v4, v24
	v_sub_f16_e32 v4, v4, v24
	s_delay_alu instid0(VALU_DEP_4) | instskip(NEXT) | instid1(VALU_DEP_1)
	v_mul_f16_e32 v24, 0xba0c, v66
	v_fmamk_f16 v67, v9, 0xb93d, v24
	s_delay_alu instid0(VALU_DEP_1) | instskip(SKIP_1) | instid1(VALU_DEP_1)
	v_add_f16_e32 v34, v67, v34
	v_mul_f16_e32 v67, 0xb93d, v5
	v_fmamk_f16 v68, v4, 0x3a0c, v67
	v_fmac_f16_e32 v67, 0xba0c, v4
	s_delay_alu instid0(VALU_DEP_2) | instskip(SKIP_4) | instid1(VALU_DEP_4)
	v_add_f16_e32 v38, v68, v38
	v_sub_f16_e32 v68, v7, v8
	v_add_f16_e32 v7, v7, v8
	v_add_f16_e32 v8, v2, v3
	v_sub_f16_e32 v2, v2, v3
	v_mul_f16_e32 v3, 0xb482, v68
	s_delay_alu instid0(VALU_DEP_1) | instskip(SKIP_1) | instid1(VALU_DEP_2)
	v_fmamk_f16 v70, v8, 0xbbad, v3
	v_fma_f16 v3, v8, 0xbbad, -v3
	v_add_f16_e32 v34, v70, v34
	v_mul_f16_e32 v70, 0xbbad, v7
	s_delay_alu instid0(VALU_DEP_1) | instskip(SKIP_1) | instid1(VALU_DEP_2)
	v_fmamk_f16 v71, v2, 0x3482, v70
	v_fmac_f16_e32 v70, 0xb482, v2
	v_add_f16_e32 v38, v71, v38
	s_delay_alu instid0(VALU_DEP_1)
	v_pack_b32_f16 v30, v34, v38
	v_add_nc_u32_e32 v34, 0x1000, v160
	v_mul_f16_e32 v38, 0xba0c, v33
	ds_store_2addr_b32 v34, v0, v30 offset0:98 offset1:149
	v_mul_f16_e32 v0, 0xbb47, v32
	v_fmamk_f16 v71, v29, 0xb93d, v38
	s_delay_alu instid0(VALU_DEP_2) | instskip(SKIP_1) | instid1(VALU_DEP_2)
	v_fmamk_f16 v30, v1, 0x36a6, v0
	v_fma_f16 v0, v1, 0x36a6, -v0
	v_add_f16_e32 v30, v21, v30
	s_delay_alu instid0(VALU_DEP_2) | instskip(NEXT) | instid1(VALU_DEP_2)
	v_add_f16_e32 v0, v21, v0
	v_add_f16_e32 v30, v71, v30
	v_mul_f16_e32 v71, 0x36a6, v22
	s_delay_alu instid0(VALU_DEP_1) | instskip(SKIP_1) | instid1(VALU_DEP_2)
	v_fmamk_f16 v72, v14, 0x3b47, v71
	v_fmac_f16_e32 v71, 0xbb47, v14
	v_add_f16_e32 v72, v28, v72
	s_delay_alu instid0(VALU_DEP_1) | instskip(SKIP_1) | instid1(VALU_DEP_1)
	v_add_f16_e32 v72, v74, v72
	v_mul_f16_e32 v74, 0xbbeb, v32
	v_fmamk_f16 v75, v1, 0xb08e, v74
	s_delay_alu instid0(VALU_DEP_1) | instskip(NEXT) | instid1(VALU_DEP_1)
	v_add_f16_e32 v75, v21, v75
	v_add_f16_e32 v75, v77, v75
	v_mul_f16_e32 v77, 0xb08e, v22
	s_delay_alu instid0(VALU_DEP_1) | instskip(SKIP_1) | instid1(VALU_DEP_2)
	v_fmamk_f16 v78, v14, 0x3beb, v77
	v_fmac_f16_e32 v77, 0xbbeb, v14
	v_add_f16_e32 v78, v28, v78
	s_delay_alu instid0(VALU_DEP_1) | instskip(SKIP_1) | instid1(VALU_DEP_1)
	v_add_f16_e32 v78, v81, v78
	v_mul_f16_e32 v81, 0x3482, v42
	v_fmamk_f16 v82, v26, 0xbbad, v81
	s_delay_alu instid0(VALU_DEP_1) | instskip(SKIP_1) | instid1(VALU_DEP_1)
	v_add_f16_e32 v30, v82, v30
	v_mul_f16_e32 v82, 0xbbad, v6
	v_fmamk_f16 v83, v10, 0xb482, v82
	v_fmac_f16_e32 v82, 0x3482, v10
	s_delay_alu instid0(VALU_DEP_2) | instskip(SKIP_1) | instid1(VALU_DEP_1)
	v_add_f16_e32 v72, v83, v72
	v_mul_f16_e32 v83, 0x3b47, v42
	v_fmamk_f16 v84, v26, 0x36a6, v83
	s_delay_alu instid0(VALU_DEP_1) | instskip(SKIP_1) | instid1(VALU_DEP_1)
	v_add_f16_e32 v75, v84, v75
	v_mul_f16_e32 v84, 0x36a6, v6
	v_fmamk_f16 v85, v10, 0xbb47, v84
	v_fmac_f16_e32 v84, 0x3b47, v10
	s_delay_alu instid0(VALU_DEP_2) | instskip(SKIP_1) | instid1(VALU_DEP_1)
	;; [unrolled: 9-line block ×4, first 2 shown]
	v_add_f16_e32 v78, v89, v78
	v_mul_f16_e32 v89, 0x3853, v68
	v_fmamk_f16 v90, v8, 0x3abb, v89
	s_delay_alu instid0(VALU_DEP_1) | instskip(SKIP_1) | instid1(VALU_DEP_1)
	v_add_f16_e32 v30, v90, v30
	v_mul_f16_e32 v90, 0x3abb, v7
	v_fmamk_f16 v91, v2, 0xb853, v90
	v_fmac_f16_e32 v90, 0x3853, v2
	s_delay_alu instid0(VALU_DEP_2) | instskip(SKIP_1) | instid1(VALU_DEP_2)
	v_add_f16_e32 v72, v91, v72
	v_mul_f16_e32 v91, 0xba0c, v68
	v_pack_b32_f16 v30, v30, v72
	s_delay_alu instid0(VALU_DEP_2) | instskip(NEXT) | instid1(VALU_DEP_1)
	v_fmamk_f16 v92, v8, 0xb93d, v91
	v_add_f16_e32 v75, v92, v75
	v_mul_f16_e32 v92, 0xb93d, v7
	s_delay_alu instid0(VALU_DEP_1) | instskip(SKIP_1) | instid1(VALU_DEP_2)
	v_fmamk_f16 v93, v2, 0x3a0c, v92
	v_fmac_f16_e32 v92, 0xba0c, v2
	v_add_f16_e32 v78, v93, v78
	v_mul_f16_e32 v93, 0xb08e, v15
	v_mul_f16_e32 v15, 0x3abb, v15
	s_delay_alu instid0(VALU_DEP_3) | instskip(NEXT) | instid1(VALU_DEP_3)
	v_pack_b32_f16 v72, v75, v78
	v_fmamk_f16 v94, v11, 0xbbeb, v93
	s_delay_alu instid0(VALU_DEP_3)
	v_fmamk_f16 v96, v11, 0xb853, v15
	v_fmac_f16_e32 v93, 0x3beb, v11
	v_fmac_f16_e32 v15, 0x3853, v11
	ds_store_2addr_b32 v34, v30, v72 offset0:200 offset1:251
	v_mul_f16_e32 v30, 0xba0c, v32
	v_mul_f16_e32 v72, 0x3beb, v33
	v_mul_f16_e32 v32, 0xb482, v32
	v_mul_f16_e32 v33, 0x3853, v33
	s_delay_alu instid0(VALU_DEP_4) | instskip(NEXT) | instid1(VALU_DEP_4)
	v_fmamk_f16 v34, v1, 0xb93d, v30
	v_fmamk_f16 v75, v29, 0xb08e, v72
	v_fma_f16 v30, v1, 0xb93d, -v30
	s_delay_alu instid0(VALU_DEP_4) | instskip(SKIP_2) | instid1(VALU_DEP_4)
	v_fmamk_f16 v95, v29, 0x3abb, v33
	v_fma_f16 v33, v29, 0x3abb, -v33
	v_add_f16_e32 v34, v21, v34
	v_add_f16_e32 v30, v21, v30
	s_delay_alu instid0(VALU_DEP_2) | instskip(SKIP_2) | instid1(VALU_DEP_2)
	v_add_f16_e32 v34, v75, v34
	v_mul_f16_e32 v75, 0xb93d, v22
	v_mul_f16_e32 v22, 0xbbad, v22
	v_fmamk_f16 v78, v14, 0x3a0c, v75
	v_fmac_f16_e32 v75, 0xba0c, v14
	s_delay_alu instid0(VALU_DEP_2) | instskip(NEXT) | instid1(VALU_DEP_1)
	v_add_f16_e32 v78, v28, v78
	v_add_f16_e32 v78, v94, v78
	v_fmamk_f16 v94, v1, 0xbbad, v32
	v_fma_f16 v32, v1, 0xbbad, -v32
	s_delay_alu instid0(VALU_DEP_2) | instskip(NEXT) | instid1(VALU_DEP_2)
	v_add_f16_e32 v94, v21, v94
	v_add_f16_e32 v32, v21, v32
	s_delay_alu instid0(VALU_DEP_2) | instskip(SKIP_2) | instid1(VALU_DEP_4)
	v_add_f16_e32 v94, v95, v94
	v_fmamk_f16 v95, v14, 0x3482, v22
	v_fmac_f16_e32 v22, 0xb482, v14
	v_add_f16_e32 v32, v33, v32
	s_delay_alu instid0(VALU_DEP_3) | instskip(NEXT) | instid1(VALU_DEP_3)
	v_add_f16_e32 v95, v28, v95
	v_add_f16_e32 v22, v28, v22
	s_delay_alu instid0(VALU_DEP_2) | instskip(SKIP_2) | instid1(VALU_DEP_4)
	v_add_f16_e32 v95, v96, v95
	v_mul_f16_e32 v96, 0xb853, v42
	v_mul_f16_e32 v42, 0xba0c, v42
	v_add_f16_e32 v15, v15, v22
	s_delay_alu instid0(VALU_DEP_3) | instskip(SKIP_1) | instid1(VALU_DEP_4)
	v_fmamk_f16 v97, v26, 0x3abb, v96
	v_fma_f16 v22, v26, 0x3abb, -v96
	v_fma_f16 v33, v26, 0xb93d, -v42
	s_delay_alu instid0(VALU_DEP_3) | instskip(SKIP_2) | instid1(VALU_DEP_4)
	v_add_f16_e32 v34, v97, v34
	v_mul_f16_e32 v97, 0x3abb, v6
	v_mul_f16_e32 v6, 0xb93d, v6
	v_add_f16_e32 v32, v33, v32
	s_delay_alu instid0(VALU_DEP_3) | instskip(SKIP_1) | instid1(VALU_DEP_2)
	v_fmamk_f16 v98, v10, 0x3853, v97
	v_fmac_f16_e32 v97, 0xb853, v10
	v_add_f16_e32 v78, v98, v78
	v_fmamk_f16 v98, v26, 0xb93d, v42
	s_delay_alu instid0(VALU_DEP_1) | instskip(SKIP_2) | instid1(VALU_DEP_2)
	v_add_f16_e32 v94, v98, v94
	v_fmamk_f16 v98, v10, 0x3a0c, v6
	v_fmac_f16_e32 v6, 0xba0c, v10
	v_add_f16_e32 v95, v98, v95
	v_mul_f16_e32 v98, 0xb482, v66
	v_mul_f16_e32 v66, 0x3b47, v66
	s_delay_alu instid0(VALU_DEP_4) | instskip(NEXT) | instid1(VALU_DEP_3)
	v_add_f16_e32 v6, v6, v15
	v_fmamk_f16 v99, v9, 0xbbad, v98
	v_fma_f16 v15, v9, 0xbbad, -v98
	s_delay_alu instid0(VALU_DEP_2) | instskip(SKIP_2) | instid1(VALU_DEP_2)
	v_add_f16_e32 v34, v99, v34
	v_mul_f16_e32 v99, 0xbbad, v5
	v_mul_f16_e32 v5, 0x36a6, v5
	v_fmamk_f16 v100, v4, 0x3482, v99
	v_fmac_f16_e32 v99, 0xb482, v4
	s_delay_alu instid0(VALU_DEP_2) | instskip(SKIP_1) | instid1(VALU_DEP_1)
	v_add_f16_e32 v78, v100, v78
	v_fmamk_f16 v100, v9, 0x36a6, v66
	v_add_f16_e32 v94, v100, v94
	v_fmamk_f16 v100, v4, 0xbb47, v5
	v_fmac_f16_e32 v5, 0x3b47, v4
	s_delay_alu instid0(VALU_DEP_2) | instskip(SKIP_2) | instid1(VALU_DEP_4)
	v_add_f16_e32 v95, v100, v95
	v_mul_f16_e32 v100, 0x3b47, v68
	v_mul_f16_e32 v68, 0xbbeb, v68
	v_add_f16_e32 v5, v5, v6
	s_delay_alu instid0(VALU_DEP_3) | instskip(SKIP_1) | instid1(VALU_DEP_2)
	v_fmamk_f16 v101, v8, 0x36a6, v100
	v_fma_f16 v6, v8, 0x36a6, -v100
	v_add_f16_e32 v34, v101, v34
	v_mul_f16_e32 v101, 0x36a6, v7
	v_mul_f16_e32 v7, 0xb08e, v7
	s_delay_alu instid0(VALU_DEP_2) | instskip(SKIP_1) | instid1(VALU_DEP_2)
	v_fmamk_f16 v102, v2, 0xbb47, v101
	v_fmac_f16_e32 v101, 0x3b47, v2
	v_add_f16_e32 v78, v102, v78
	v_fmamk_f16 v102, v8, 0xb08e, v68
	s_delay_alu instid0(VALU_DEP_2) | instskip(NEXT) | instid1(VALU_DEP_2)
	v_pack_b32_f16 v34, v34, v78
	v_add_f16_e32 v94, v102, v94
	v_fmamk_f16 v102, v2, 0x3beb, v7
	v_fmac_f16_e32 v7, 0xbbeb, v2
	s_delay_alu instid0(VALU_DEP_2) | instskip(NEXT) | instid1(VALU_DEP_2)
	v_add_f16_e32 v95, v102, v95
	v_add_f16_e32 v5, v7, v5
	s_delay_alu instid0(VALU_DEP_2) | instskip(SKIP_3) | instid1(VALU_DEP_1)
	v_pack_b32_f16 v78, v94, v95
	v_add_nc_u32_e32 v94, 0x1400, v160
	ds_store_2addr_b32 v94, v34, v78 offset0:46 offset1:97
	v_fma_f16 v34, v29, 0xb08e, -v72
	v_add_f16_e32 v30, v34, v30
	v_add_f16_e32 v34, v28, v75
	s_delay_alu instid0(VALU_DEP_2) | instskip(NEXT) | instid1(VALU_DEP_2)
	v_add_f16_e32 v22, v22, v30
	v_add_f16_e32 v34, v93, v34
	s_delay_alu instid0(VALU_DEP_2) | instskip(NEXT) | instid1(VALU_DEP_2)
	;; [unrolled: 3-line block ×3, first 2 shown]
	v_add_f16_e32 v6, v6, v15
	v_add_f16_e32 v22, v99, v30
	v_fma_f16 v30, v9, 0x36a6, -v66
	v_fma_f16 v15, v8, 0xb08e, -v68
	s_delay_alu instid0(VALU_DEP_3) | instskip(NEXT) | instid1(VALU_DEP_3)
	v_add_f16_e32 v7, v101, v22
	v_add_f16_e32 v30, v30, v32
	s_delay_alu instid0(VALU_DEP_2) | instskip(NEXT) | instid1(VALU_DEP_2)
	v_pack_b32_f16 v6, v6, v7
	v_add_f16_e32 v15, v15, v30
	v_fma_f16 v7, v29, 0xbbad, -v76
	s_delay_alu instid0(VALU_DEP_2) | instskip(SKIP_4) | instid1(VALU_DEP_2)
	v_pack_b32_f16 v5, v15, v5
	v_fma_f16 v15, v26, 0xbbad, -v81
	ds_store_2addr_b32 v94, v5, v6 offset0:148 offset1:199
	v_fma_f16 v5, v29, 0xb93d, -v38
	v_fma_f16 v6, v1, 0xb08e, -v74
	v_add_f16_e32 v0, v5, v0
	s_delay_alu instid0(VALU_DEP_2) | instskip(SKIP_1) | instid1(VALU_DEP_3)
	v_add_f16_e32 v6, v21, v6
	v_add_f16_e32 v5, v28, v71
	v_add_f16_e32 v0, v15, v0
	s_delay_alu instid0(VALU_DEP_3) | instskip(SKIP_3) | instid1(VALU_DEP_3)
	v_add_f16_e32 v6, v7, v6
	v_fma_f16 v15, v26, 0x36a6, -v83
	v_add_f16_e32 v7, v28, v77
	v_add_f16_e32 v5, v73, v5
	;; [unrolled: 1-line block ×3, first 2 shown]
	v_fma_f16 v15, v9, 0xb08e, -v85
	s_delay_alu instid0(VALU_DEP_4) | instskip(NEXT) | instid1(VALU_DEP_4)
	v_add_f16_e32 v7, v79, v7
	v_add_f16_e32 v5, v82, v5
	s_delay_alu instid0(VALU_DEP_3) | instskip(SKIP_1) | instid1(VALU_DEP_4)
	v_add_f16_e32 v0, v15, v0
	v_fma_f16 v15, v9, 0x3abb, -v87
	v_add_f16_e32 v7, v84, v7
	s_delay_alu instid0(VALU_DEP_4) | instskip(NEXT) | instid1(VALU_DEP_3)
	v_add_f16_e32 v5, v86, v5
	v_add_f16_e32 v6, v15, v6
	v_fma_f16 v15, v8, 0x3abb, -v89
	s_delay_alu instid0(VALU_DEP_4) | instskip(NEXT) | instid1(VALU_DEP_4)
	v_add_f16_e32 v7, v88, v7
	v_add_f16_e32 v5, v90, v5
	s_delay_alu instid0(VALU_DEP_3) | instskip(SKIP_1) | instid1(VALU_DEP_4)
	v_add_f16_e32 v0, v15, v0
	v_fma_f16 v15, v8, 0xb93d, -v91
	v_add_f16_e32 v7, v92, v7
	s_delay_alu instid0(VALU_DEP_3) | instskip(NEXT) | instid1(VALU_DEP_3)
	v_pack_b32_f16 v0, v0, v5
	v_add_f16_e32 v6, v15, v6
	v_add_nc_u32_e32 v5, 0x1600, v160
	s_delay_alu instid0(VALU_DEP_2) | instskip(SKIP_4) | instid1(VALU_DEP_3)
	v_pack_b32_f16 v6, v6, v7
	ds_store_2addr_b32 v5, v6, v0 offset0:122 offset1:173
	v_fma_f16 v0, v1, 0x3abb, -v13
	v_add_f16_e32 v1, v28, v37
	v_fma_f16 v5, v29, 0x36a6, -v36
	v_add_f16_e32 v0, v21, v0
	s_delay_alu instid0(VALU_DEP_3) | instskip(NEXT) | instid1(VALU_DEP_2)
	v_add_f16_e32 v1, v41, v1
	v_add_f16_e32 v0, v5, v0
	v_fma_f16 v5, v26, 0xb08e, -v12
	s_delay_alu instid0(VALU_DEP_3) | instskip(NEXT) | instid1(VALU_DEP_2)
	v_add_f16_e32 v1, v65, v1
	v_add_f16_e32 v0, v5, v0
	v_fma_f16 v5, v9, 0xb93d, -v24
	s_delay_alu instid0(VALU_DEP_3) | instskip(NEXT) | instid1(VALU_DEP_2)
	v_add_f16_e32 v1, v67, v1
	v_add_f16_e32 v0, v5, v0
	s_delay_alu instid0(VALU_DEP_2) | instskip(NEXT) | instid1(VALU_DEP_2)
	v_add_f16_e32 v1, v70, v1
	v_add_f16_e32 v0, v3, v0
	s_delay_alu instid0(VALU_DEP_1)
	v_pack_b32_f16 v0, v0, v1
	ds_store_b32 v160, v0 offset:6528
	s_waitcnt lgkmcnt(0)
	s_barrier
	buffer_gl0_inv
	scratch_load_b32 v20, off, off offset:96 ; 4-byte Folded Reload
	ds_load_2addr_b32 v[0:1], v69 offset0:124 offset1:175
	s_waitcnt lgkmcnt(0)
	v_lshrrev_b32_e32 v2, 16, v1
	v_mul_f16_e64 v3, v193, v1
	s_delay_alu instid0(VALU_DEP_2) | instskip(NEXT) | instid1(VALU_DEP_2)
	v_mul_f16_e64 v4, v193, v2
	v_fma_f16 v5, v61, v2, -v3
	ds_load_b32 v3, v207 offset:6528
	v_fmac_f16_e32 v4, v61, v1
	v_lshrrev_b32_e32 v1, 16, v0
	s_delay_alu instid0(VALU_DEP_1) | instskip(NEXT) | instid1(VALU_DEP_1)
	v_mul_f16_e64 v10, v197, v1
	v_fmac_f16_e32 v10, v59, v0
	s_waitcnt lgkmcnt(0)
	v_lshrrev_b32_e32 v6, 16, v3
	v_mul_f16_e64 v7, v158, v3
	s_delay_alu instid0(VALU_DEP_2) | instskip(NEXT) | instid1(VALU_DEP_1)
	v_mul_f16_e64 v2, v158, v6
	v_fmac_f16_e32 v2, v62, v3
	s_delay_alu instid0(VALU_DEP_3) | instskip(SKIP_1) | instid1(VALU_DEP_1)
	v_fma_f16 v3, v62, v6, -v7
	v_mul_f16_e64 v6, v197, v0
	v_fma_f16 v11, v59, v1, -v6
	ds_load_2addr_b32 v[0:1], v39 offset0:122 offset1:173
	s_waitcnt lgkmcnt(0)
	v_lshrrev_b32_e32 v7, 16, v1
	v_mul_f16_e64 v8, v215, v1
	v_lshrrev_b32_e32 v9, 16, v0
	v_mul_f16_e64 v14, v180, v0
	s_delay_alu instid0(VALU_DEP_4) | instskip(NEXT) | instid1(VALU_DEP_4)
	v_mul_f16_e64 v6, v215, v7
	v_fma_f16 v7, v60, v7, -v8
	s_delay_alu instid0(VALU_DEP_4) | instskip(NEXT) | instid1(VALU_DEP_4)
	v_mul_f16_e64 v8, v180, v9
	v_fma_f16 v9, v50, v9, -v14
	s_delay_alu instid0(VALU_DEP_4) | instskip(NEXT) | instid1(VALU_DEP_3)
	v_fmac_f16_e32 v6, v60, v1
	v_fmac_f16_e32 v8, v50, v0
	ds_load_2addr_b32 v[0:1], v40 offset0:150 offset1:201
	s_waitcnt lgkmcnt(0)
	v_lshrrev_b32_e32 v13, 16, v1
	v_mul_f16_e64 v15, v186, v1
	v_mul_f16_e64 v14, v192, v0
	s_delay_alu instid0(VALU_DEP_3) | instskip(NEXT) | instid1(VALU_DEP_3)
	v_mul_f16_e64 v12, v186, v13
	v_fma_f16 v13, v49, v13, -v15
	s_delay_alu instid0(VALU_DEP_2) | instskip(SKIP_1) | instid1(VALU_DEP_1)
	v_fmac_f16_e32 v12, v49, v1
	v_lshrrev_b32_e32 v1, 16, v0
	v_mul_f16_e64 v28, v192, v1
	v_fma_f16 v29, v57, v1, -v14
	s_delay_alu instid0(VALU_DEP_2)
	v_fmac_f16_e32 v28, v57, v0
	ds_load_2addr_b32 v[0:1], v35 offset0:148 offset1:199
	s_waitcnt lgkmcnt(0)
	v_lshrrev_b32_e32 v15, 16, v1
	v_mul_f16_e64 v21, v191, v1
	v_lshrrev_b32_e32 v22, 16, v0
	v_mul_f16_e64 v30, v190, v0
	s_delay_alu instid0(VALU_DEP_4) | instskip(NEXT) | instid1(VALU_DEP_4)
	v_mul_f16_e64 v14, v191, v15
	v_fma_f16 v15, v58, v15, -v21
	s_delay_alu instid0(VALU_DEP_4) | instskip(NEXT) | instid1(VALU_DEP_4)
	v_mul_f16_e64 v21, v190, v22
	v_fma_f16 v22, v56, v22, -v30
	s_delay_alu instid0(VALU_DEP_4) | instskip(NEXT) | instid1(VALU_DEP_3)
	v_fmac_f16_e32 v14, v58, v1
	v_fmac_f16_e32 v21, v56, v0
	ds_load_2addr_b32 v[0:1], v40 offset0:48 offset1:99
	s_waitcnt lgkmcnt(0)
	v_lshrrev_b32_e32 v26, 16, v1
	v_mul_f16_e32 v32, v104, v1
	s_delay_alu instid0(VALU_DEP_2) | instskip(NEXT) | instid1(VALU_DEP_2)
	v_mul_f16_e32 v24, v104, v26
	v_fma_f16 v26, v55, v26, -v32
	v_mul_f16_e64 v32, v189, v0
	s_delay_alu instid0(VALU_DEP_3) | instskip(SKIP_1) | instid1(VALU_DEP_1)
	v_fmac_f16_e32 v24, v55, v1
	v_lshrrev_b32_e32 v1, 16, v0
	v_mul_f16_e64 v30, v189, v1
	s_delay_alu instid0(VALU_DEP_4) | instskip(NEXT) | instid1(VALU_DEP_2)
	v_fma_f16 v34, v187, v1, -v32
	v_fmac_f16_e64 v30, v187, v0
	ds_load_2addr_b32 v[0:1], v35 offset0:46 offset1:97
	s_waitcnt lgkmcnt(0)
	v_lshrrev_b32_e32 v32, 16, v1
	v_mul_f16_e64 v33, v198, v1
	s_delay_alu instid0(VALU_DEP_2) | instskip(NEXT) | instid1(VALU_DEP_2)
	v_mul_f16_e64 v36, v198, v32
	v_fma_f16 v37, v188, v32, -v33
	v_lshrrev_b32_e32 v32, 16, v0
	v_mul_f16_e64 v33, v177, v0
	s_delay_alu instid0(VALU_DEP_4) | instskip(NEXT) | instid1(VALU_DEP_3)
	v_fmac_f16_e64 v36, v188, v1
	v_mul_f16_e64 v38, v177, v32
	s_delay_alu instid0(VALU_DEP_1) | instskip(SKIP_4) | instid1(VALU_DEP_1)
	v_fmac_f16_e32 v38, v52, v0
	ds_load_2addr_b32 v[0:1], v31 offset0:202 offset1:253
	s_waitcnt lgkmcnt(0)
	v_lshrrev_b32_e32 v41, 16, v1
	s_waitcnt vmcnt(0)
	v_mul_f16_e32 v53, v20, v41
	v_mul_f16_e32 v42, v20, v1
	scratch_load_b32 v20, off, off offset:76 ; 4-byte Folded Reload
	v_fmac_f16_e32 v53, v51, v1
	v_lshrrev_b32_e32 v1, 16, v0
	v_fma_f16 v41, v51, v41, -v42
	v_fma_f16 v42, v52, v32, -v33
	v_mul_f16_e64 v32, v212, v0
	s_delay_alu instid0(VALU_DEP_4) | instskip(NEXT) | instid1(VALU_DEP_2)
	v_mul_f16_e64 v51, v212, v1
	v_fma_f16 v49, v47, v1, -v32
	s_delay_alu instid0(VALU_DEP_2) | instskip(SKIP_4) | instid1(VALU_DEP_2)
	v_fmac_f16_e32 v51, v47, v0
	ds_load_2addr_b32 v[0:1], v27 offset0:200 offset1:251
	s_waitcnt lgkmcnt(0)
	v_lshrrev_b32_e32 v32, 16, v1
	v_mul_f16_e64 v33, v179, v1
	v_mul_f16_e64 v52, v179, v32
	s_delay_alu instid0(VALU_DEP_2) | instskip(SKIP_1) | instid1(VALU_DEP_3)
	v_fma_f16 v54, v48, v32, -v33
	v_lshrrev_b32_e32 v32, 16, v0
	v_fmac_f16_e32 v52, v48, v1
	scratch_load_b32 v1, off, off offset:64 ; 4-byte Folded Reload
	s_waitcnt vmcnt(0)
	v_mul_f16_e32 v50, v1, v32
	v_mul_f16_e32 v33, v1, v0
	s_delay_alu instid0(VALU_DEP_2)
	v_fmac_f16_e64 v50, v184, v0
	ds_load_2addr_b32 v[0:1], v31 offset0:100 offset1:151
	v_fma_f16 v48, v184, v32, -v33
	s_waitcnt lgkmcnt(0)
	v_lshrrev_b32_e32 v55, 16, v1
	v_mul_f16_e64 v56, v185, v1
	v_mul_f16_e32 v32, v20, v0
	s_delay_alu instid0(VALU_DEP_3) | instskip(NEXT) | instid1(VALU_DEP_3)
	v_mul_f16_e64 v57, v185, v55
	v_fma_f16 v55, v183, v55, -v56
	s_delay_alu instid0(VALU_DEP_2) | instskip(SKIP_1) | instid1(VALU_DEP_1)
	v_fmac_f16_e64 v57, v183, v1
	v_lshrrev_b32_e32 v1, 16, v0
	v_mul_f16_e32 v47, v20, v1
	scratch_load_b32 v20, off, off offset:84 ; 4-byte Folded Reload
	v_fmac_f16_e32 v47, v45, v0
	v_fma_f16 v45, v45, v1, -v32
	ds_load_2addr_b32 v[0:1], v27 offset0:98 offset1:149
	s_waitcnt lgkmcnt(0)
	v_lshrrev_b32_e32 v32, 16, v1
	s_waitcnt vmcnt(0)
	s_delay_alu instid0(VALU_DEP_1) | instskip(SKIP_1) | instid1(VALU_DEP_2)
	v_mul_f16_e32 v56, v20, v32
	v_mul_f16_e32 v33, v20, v1
	v_fmac_f16_e32 v56, v46, v1
	scratch_load_b32 v1, off, off offset:72 ; 4-byte Folded Reload
	v_fma_f16 v58, v46, v32, -v33
	v_lshrrev_b32_e32 v32, 16, v0
	s_waitcnt vmcnt(0)
	s_delay_alu instid0(VALU_DEP_1) | instskip(SKIP_1) | instid1(VALU_DEP_2)
	v_mul_f16_e32 v46, v1, v32
	v_mul_f16_e32 v33, v1, v0
	v_fmac_f16_e32 v46, v44, v0
	ds_load_2addr_b32 v[0:1], v25 offset0:126 offset1:177
	v_fma_f16 v44, v44, v32, -v33
	ds_load_2addr_b32 v[32:33], v207 offset1:51
	s_waitcnt lgkmcnt(1)
	v_lshrrev_b32_e32 v59, 16, v1
	v_mul_f16_e64 v60, v178, v1
	s_delay_alu instid0(VALU_DEP_2) | instskip(NEXT) | instid1(VALU_DEP_2)
	v_mul_f16_e64 v61, v178, v59
	v_fma_f16 v59, v43, v59, -v60
	s_waitcnt lgkmcnt(0)
	v_add_f16_e32 v60, v33, v47
	s_delay_alu instid0(VALU_DEP_3) | instskip(SKIP_2) | instid1(VALU_DEP_2)
	v_fmac_f16_e32 v61, v43, v1
	v_add_f16_e32 v1, v47, v56
	v_lshrrev_b32_e32 v43, 16, v33
	v_fmac_f16_e32 v33, -0.5, v1
	v_add_f16_e32 v1, v45, v58
	s_delay_alu instid0(VALU_DEP_3) | instskip(NEXT) | instid1(VALU_DEP_2)
	v_add_f16_e32 v62, v43, v45
	v_fmac_f16_e32 v43, -0.5, v1
	v_sub_f16_e32 v1, v45, v58
	s_delay_alu instid0(VALU_DEP_3) | instskip(NEXT) | instid1(VALU_DEP_2)
	v_add_f16_e32 v58, v62, v58
	v_fmamk_f16 v45, v1, 0xbaee, v33
	v_fmac_f16_e32 v33, 0x3aee, v1
	v_sub_f16_e32 v1, v47, v56
	v_add_f16_e32 v56, v60, v56
	s_delay_alu instid0(VALU_DEP_2) | instskip(SKIP_2) | instid1(VALU_DEP_4)
	v_fmamk_f16 v47, v1, 0x3aee, v43
	v_fmac_f16_e32 v43, 0xbaee, v1
	v_add_f16_e32 v1, v61, v46
	v_pack_b32_f16 v56, v56, v58
	s_delay_alu instid0(VALU_DEP_3) | instskip(NEXT) | instid1(VALU_DEP_3)
	v_pack_b32_f16 v33, v33, v43
	v_fma_f16 v1, -0.5, v1, v32
	v_add_f16_e32 v43, v32, v61
	v_lshrrev_b32_e32 v32, 16, v32
	s_delay_alu instid0(VALU_DEP_2) | instskip(NEXT) | instid1(VALU_DEP_2)
	v_add_f16_e32 v43, v43, v46
	v_add_f16_e32 v60, v32, v59
	s_delay_alu instid0(VALU_DEP_1) | instskip(NEXT) | instid1(VALU_DEP_1)
	v_add_f16_e32 v60, v60, v44
	v_pack_b32_f16 v43, v43, v60
	ds_store_2addr_b32 v207, v43, v56 offset1:51
	v_add_f16_e32 v43, v59, v44
	v_sub_f16_e32 v44, v59, v44
	s_delay_alu instid0(VALU_DEP_2) | instskip(SKIP_1) | instid1(VALU_DEP_3)
	v_fmac_f16_e32 v32, -0.5, v43
	v_sub_f16_e32 v43, v61, v46
	v_fmamk_f16 v46, v44, 0xbaee, v1
	v_fmac_f16_e32 v1, 0x3aee, v44
	s_delay_alu instid0(VALU_DEP_3) | instskip(SKIP_2) | instid1(VALU_DEP_2)
	v_fmamk_f16 v44, v43, 0x3aee, v32
	v_fmac_f16_e32 v32, 0xbaee, v43
	v_add_f16_e32 v43, v55, v48
	v_pack_b32_f16 v1, v1, v32
	ds_store_2addr_b32 v27, v1, v33 offset0:98 offset1:149
	ds_load_2addr_b32 v[32:33], v207 offset0:102 offset1:153
	s_waitcnt lgkmcnt(0)
	v_lshrrev_b32_e32 v1, 16, v32
	s_delay_alu instid0(VALU_DEP_1)
	v_add_f16_e32 v56, v1, v55
	v_fmac_f16_e32 v1, -0.5, v43
	v_pack_b32_f16 v43, v45, v47
	v_add_f16_e32 v45, v57, v50
	v_sub_f16_e32 v47, v55, v48
	v_sub_f16_e32 v55, v57, v50
	s_delay_alu instid0(VALU_DEP_3) | instskip(SKIP_1) | instid1(VALU_DEP_3)
	v_fma_f16 v45, -0.5, v45, v32
	v_add_f16_e32 v32, v32, v57
	v_fmamk_f16 v59, v55, 0x3aee, v1
	v_fmac_f16_e32 v1, 0xbaee, v55
	s_delay_alu instid0(VALU_DEP_4) | instskip(NEXT) | instid1(VALU_DEP_4)
	v_fmamk_f16 v58, v47, 0xbaee, v45
	v_add_f16_e32 v32, v32, v50
	v_fmac_f16_e32 v45, 0x3aee, v47
	s_delay_alu instid0(VALU_DEP_3) | instskip(NEXT) | instid1(VALU_DEP_2)
	v_pack_b32_f16 v58, v58, v59
	v_pack_b32_f16 v1, v45, v1
	ds_store_2addr_b32 v31, v43, v58 offset0:100 offset1:151
	v_add_f16_e32 v43, v56, v48
	v_lshrrev_b32_e32 v48, 16, v33
	s_delay_alu instid0(VALU_DEP_2) | instskip(SKIP_1) | instid1(VALU_DEP_3)
	v_pack_b32_f16 v32, v32, v43
	v_add_f16_e32 v43, v33, v51
	v_add_f16_e32 v50, v48, v49
	s_delay_alu instid0(VALU_DEP_2) | instskip(NEXT) | instid1(VALU_DEP_2)
	v_add_f16_e32 v43, v43, v52
	v_add_f16_e32 v50, v50, v54
	s_delay_alu instid0(VALU_DEP_1) | instskip(SKIP_4) | instid1(VALU_DEP_2)
	v_pack_b32_f16 v43, v43, v50
	v_add_f16_e32 v50, v41, v42
	ds_store_2addr_b32 v207, v32, v43 offset0:102 offset1:153
	v_add_f16_e32 v32, v51, v52
	v_sub_f16_e32 v43, v49, v54
	v_fmac_f16_e32 v33, -0.5, v32
	v_add_f16_e32 v32, v49, v54
	s_delay_alu instid0(VALU_DEP_2) | instskip(NEXT) | instid1(VALU_DEP_2)
	v_fmamk_f16 v49, v43, 0xbaee, v33
	v_fmac_f16_e32 v48, -0.5, v32
	v_sub_f16_e32 v32, v51, v52
	v_fmac_f16_e32 v33, 0x3aee, v43
	s_delay_alu instid0(VALU_DEP_2) | instskip(SKIP_1) | instid1(VALU_DEP_2)
	v_fmamk_f16 v43, v32, 0x3aee, v48
	v_fmac_f16_e32 v48, 0xbaee, v32
	v_pack_b32_f16 v43, v49, v43
	s_delay_alu instid0(VALU_DEP_2)
	v_pack_b32_f16 v32, v33, v48
	v_sub_f16_e32 v49, v53, v38
	ds_store_2addr_b32 v27, v1, v32 offset0:200 offset1:251
	ds_load_2addr_b32 v[32:33], v207 offset0:204 offset1:255
	v_add_f16_e32 v1, v30, v36
	s_waitcnt lgkmcnt(0)
	v_lshrrev_b32_e32 v45, 16, v33
	v_add_f16_e32 v47, v33, v30
	s_delay_alu instid0(VALU_DEP_3) | instskip(SKIP_1) | instid1(VALU_DEP_4)
	v_fmac_f16_e32 v33, -0.5, v1
	v_add_f16_e32 v1, v34, v37
	v_add_f16_e32 v48, v45, v34
	s_delay_alu instid0(VALU_DEP_2) | instskip(SKIP_1) | instid1(VALU_DEP_3)
	v_fmac_f16_e32 v45, -0.5, v1
	v_sub_f16_e32 v1, v34, v37
	v_add_f16_e32 v37, v48, v37
	s_delay_alu instid0(VALU_DEP_2) | instskip(SKIP_3) | instid1(VALU_DEP_2)
	v_fmamk_f16 v34, v1, 0xbaee, v33
	v_fmac_f16_e32 v33, 0x3aee, v1
	v_sub_f16_e32 v1, v30, v36
	v_add_f16_e32 v36, v47, v36
	v_fmamk_f16 v30, v1, 0x3aee, v45
	v_fmac_f16_e32 v45, 0xbaee, v1
	v_add_f16_e32 v1, v53, v38
	s_delay_alu instid0(VALU_DEP_4) | instskip(NEXT) | instid1(VALU_DEP_4)
	v_pack_b32_f16 v36, v36, v37
	v_pack_b32_f16 v30, v34, v30
	s_delay_alu instid0(VALU_DEP_4) | instskip(SKIP_3) | instid1(VALU_DEP_3)
	v_pack_b32_f16 v33, v33, v45
	v_lshrrev_b32_e32 v45, 16, v32
	v_fma_f16 v1, -0.5, v1, v32
	v_add_f16_e32 v32, v32, v53
	v_add_f16_e32 v51, v45, v41
	v_fmac_f16_e32 v45, -0.5, v50
	v_sub_f16_e32 v41, v41, v42
	s_delay_alu instid0(VALU_DEP_4) | instskip(NEXT) | instid1(VALU_DEP_4)
	v_add_f16_e32 v32, v32, v38
	v_add_f16_e32 v38, v51, v42
	s_delay_alu instid0(VALU_DEP_4) | instskip(NEXT) | instid1(VALU_DEP_4)
	v_fmamk_f16 v52, v49, 0x3aee, v45
	v_fmamk_f16 v50, v41, 0xbaee, v1
	v_fmac_f16_e32 v1, 0x3aee, v41
	v_fmac_f16_e32 v45, 0xbaee, v49
	v_pack_b32_f16 v32, v32, v38
	v_add_f16_e32 v41, v26, v22
	v_pack_b32_f16 v50, v50, v52
	s_delay_alu instid0(VALU_DEP_4)
	v_pack_b32_f16 v1, v1, v45
	ds_store_2addr_b32 v207, v32, v36 offset0:204 offset1:255
	ds_store_2addr_b32 v31, v43, v50 offset0:202 offset1:253
	;; [unrolled: 1-line block ×3, first 2 shown]
	ds_load_2addr_b32 v[32:33], v23 offset0:50 offset1:101
	v_add_f16_e32 v1, v28, v14
	s_waitcnt lgkmcnt(0)
	v_lshrrev_b32_e32 v36, 16, v33
	v_add_f16_e32 v37, v33, v28
	s_delay_alu instid0(VALU_DEP_3) | instskip(SKIP_1) | instid1(VALU_DEP_4)
	v_fmac_f16_e32 v33, -0.5, v1
	v_add_f16_e32 v1, v29, v15
	v_add_f16_e32 v38, v36, v29
	s_delay_alu instid0(VALU_DEP_2) | instskip(SKIP_1) | instid1(VALU_DEP_3)
	v_fmac_f16_e32 v36, -0.5, v1
	v_sub_f16_e32 v1, v29, v15
	v_add_f16_e32 v15, v38, v15
	s_delay_alu instid0(VALU_DEP_2) | instskip(SKIP_3) | instid1(VALU_DEP_2)
	v_fmamk_f16 v29, v1, 0xbaee, v33
	v_fmac_f16_e32 v33, 0x3aee, v1
	v_sub_f16_e32 v1, v28, v14
	v_add_f16_e32 v14, v37, v14
	v_fmamk_f16 v28, v1, 0x3aee, v36
	v_fmac_f16_e32 v36, 0xbaee, v1
	v_add_f16_e32 v1, v24, v21
	s_delay_alu instid0(VALU_DEP_4) | instskip(NEXT) | instid1(VALU_DEP_3)
	v_pack_b32_f16 v14, v14, v15
	v_pack_b32_f16 v33, v33, v36
	v_lshrrev_b32_e32 v36, 16, v32
	s_delay_alu instid0(VALU_DEP_4) | instskip(SKIP_2) | instid1(VALU_DEP_4)
	v_fma_f16 v1, -0.5, v1, v32
	v_add_f16_e32 v32, v32, v24
	v_sub_f16_e32 v24, v24, v21
	v_add_f16_e32 v42, v36, v26
	v_sub_f16_e32 v26, v26, v22
	s_delay_alu instid0(VALU_DEP_4) | instskip(SKIP_1) | instid1(VALU_DEP_4)
	v_add_f16_e32 v21, v32, v21
	v_fmac_f16_e32 v36, -0.5, v41
	v_add_f16_e32 v22, v42, v22
	s_delay_alu instid0(VALU_DEP_4) | instskip(SKIP_1) | instid1(VALU_DEP_4)
	v_fmamk_f16 v34, v26, 0xbaee, v1
	v_fmac_f16_e32 v1, 0x3aee, v26
	v_fmamk_f16 v41, v24, 0x3aee, v36
	v_fmac_f16_e32 v36, 0xbaee, v24
	v_pack_b32_f16 v21, v21, v22
	v_add_f16_e32 v24, v12, v8
	v_sub_f16_e32 v26, v12, v8
	v_pack_b32_f16 v34, v34, v41
	v_pack_b32_f16 v1, v1, v36
	ds_store_2addr_b32 v23, v21, v14 offset0:50 offset1:101
	ds_load_2addr_b32 v[14:15], v23 offset0:152 offset1:203
	v_add_f16_e32 v21, v13, v9
	ds_store_2addr_b32 v40, v30, v34 offset0:48 offset1:99
	ds_store_2addr_b32 v35, v1, v33 offset0:148 offset1:199
	s_waitcnt lgkmcnt(2)
	v_lshrrev_b32_e32 v1, 16, v14
	v_fma_f16 v24, -0.5, v24, v14
	s_delay_alu instid0(VALU_DEP_2) | instskip(SKIP_3) | instid1(VALU_DEP_3)
	v_add_f16_e32 v22, v1, v13
	v_fmac_f16_e32 v1, -0.5, v21
	v_sub_f16_e32 v13, v13, v9
	v_pack_b32_f16 v21, v29, v28
	v_fmamk_f16 v29, v26, 0x3aee, v1
	s_delay_alu instid0(VALU_DEP_3) | instskip(SKIP_2) | instid1(VALU_DEP_3)
	v_fmamk_f16 v28, v13, 0xbaee, v24
	v_fmac_f16_e32 v24, 0x3aee, v13
	v_fmac_f16_e32 v1, 0xbaee, v26
	v_pack_b32_f16 v28, v28, v29
	v_add_f16_e32 v29, v15, v10
	s_delay_alu instid0(VALU_DEP_3)
	v_pack_b32_f16 v1, v24, v1
	ds_store_2addr_b32 v40, v21, v28 offset0:150 offset1:201
	v_add_f16_e32 v21, v10, v6
	v_lshrrev_b32_e32 v28, 16, v15
	v_sub_f16_e32 v10, v10, v6
	v_add_f16_e32 v6, v29, v6
	s_delay_alu instid0(VALU_DEP_4) | instskip(SKIP_3) | instid1(VALU_DEP_3)
	v_fmac_f16_e32 v15, -0.5, v21
	v_add_f16_e32 v21, v11, v7
	v_add_f16_e32 v30, v28, v11
	v_sub_f16_e32 v11, v11, v7
	v_fmac_f16_e32 v28, -0.5, v21
	s_delay_alu instid0(VALU_DEP_3) | instskip(NEXT) | instid1(VALU_DEP_3)
	v_add_f16_e32 v7, v30, v7
	v_fmamk_f16 v21, v11, 0xbaee, v15
	v_fmac_f16_e32 v15, 0x3aee, v11
	s_delay_alu instid0(VALU_DEP_4) | instskip(SKIP_4) | instid1(VALU_DEP_4)
	v_fmamk_f16 v11, v10, 0x3aee, v28
	v_fmac_f16_e32 v28, 0xbaee, v10
	v_add_f16_e32 v10, v14, v12
	v_add_f16_e32 v14, v4, v2
	v_pack_b32_f16 v6, v6, v7
	v_pack_b32_f16 v12, v15, v28
	v_lshrrev_b32_e32 v15, 16, v0
	v_add_f16_e32 v28, v0, v4
	v_fmac_f16_e32 v0, -0.5, v14
	v_add_f16_e32 v14, v5, v3
	v_sub_f16_e32 v4, v4, v2
	v_add_f16_e32 v32, v15, v5
	v_sub_f16_e32 v5, v5, v3
	ds_store_2addr_b32 v39, v1, v12 offset0:122 offset1:173
	v_fmac_f16_e32 v15, -0.5, v14
	v_add_f16_e32 v1, v28, v2
	v_add_f16_e32 v2, v32, v3
	v_fmamk_f16 v14, v5, 0xbaee, v0
	v_fmac_f16_e32 v0, 0x3aee, v5
	v_fmamk_f16 v5, v4, 0x3aee, v15
	v_fmac_f16_e32 v15, 0xbaee, v4
	v_add_f16_e32 v4, v10, v8
	v_add_f16_e32 v8, v22, v9
	v_pack_b32_f16 v3, v46, v44
	v_pack_b32_f16 v1, v1, v2
	v_pack_b32_f16 v2, v14, v5
	v_pack_b32_f16 v0, v0, v15
	v_pack_b32_f16 v4, v4, v8
	v_add_nc_u32_e32 v15, 0x200, v207
	ds_store_2addr_b32 v25, v1, v3 offset0:126 offset1:177
	v_pack_b32_f16 v1, v21, v11
	ds_store_2addr_b32 v23, v4, v6 offset0:152 offset1:203
	ds_store_2addr_b32 v69, v1, v2 offset0:124 offset1:175
	ds_store_b32 v207, v0 offset:6528
	s_waitcnt lgkmcnt(0)
	s_barrier
	buffer_gl0_inv
	ds_load_2addr_b32 v[0:1], v207 offset1:99
	v_lshrrev_b32_e32 v4, 16, v138
	s_waitcnt lgkmcnt(0)
	v_lshrrev_b32_e32 v2, 16, v0
	s_delay_alu instid0(VALU_DEP_2) | instskip(NEXT) | instid1(VALU_DEP_2)
	v_mul_f16_e32 v3, v4, v0
	v_mul_f16_e32 v5, v4, v2
	s_delay_alu instid0(VALU_DEP_2) | instskip(SKIP_2) | instid1(VALU_DEP_4)
	v_fma_f16 v4, v138, v2, -v3
	v_lshrrev_b32_e32 v2, 16, v1
	v_lshrrev_b32_e32 v3, 16, v136
	v_fmac_f16_e64 v5, v138, v0
	s_delay_alu instid0(VALU_DEP_2) | instskip(SKIP_1) | instid1(VALU_DEP_2)
	v_mul_f16_e32 v0, v3, v2
	v_mul_f16_e32 v3, v3, v1
	v_fmac_f16_e64 v0, v136, v1
	s_delay_alu instid0(VALU_DEP_2) | instskip(SKIP_4) | instid1(VALU_DEP_1)
	v_fma_f16 v6, v136, v2, -v3
	scratch_load_b64 v[1:2], off, off offset:44 ; 8-byte Folded Reload
	v_cvt_f32_f16_e32 v0, v0
	s_waitcnt vmcnt(0)
	v_mov_b32_e32 v7, v1
	v_mad_u64_u32 v[8:9], null, s10, v7, 0
	s_delay_alu instid0(VALU_DEP_1) | instskip(NEXT) | instid1(VALU_DEP_1)
	v_mov_b32_e32 v1, v9
	v_mad_u64_u32 v[2:3], null, s11, v7, v[1:2]
	v_cvt_f32_f16_e32 v1, v4
	s_mov_b32 s10, 0x87d568ce
	s_mov_b32 s11, 0x3f437851
	v_lshrrev_b32_e32 v7, 16, v134
	s_delay_alu instid0(VALU_DEP_2) | instskip(NEXT) | instid1(VALU_DEP_4)
	v_cvt_f64_f32_e32 v[3:4], v1
	v_mov_b32_e32 v9, v2
	s_delay_alu instid0(VALU_DEP_1) | instskip(NEXT) | instid1(VALU_DEP_3)
	v_lshlrev_b64 v[8:9], 2, v[8:9]
	v_mul_f64 v[11:12], v[3:4], s[10:11]
	scratch_load_b32 v4, off, off           ; 4-byte Folded Reload
	v_and_or_b32 v1, 0x1ff, v12, v11
	v_lshrrev_b32_e32 v3, 8, v12
	v_bfe_u32 v24, v12, 20, 11
	v_lshrrev_b32_e32 v12, 16, v12
	s_delay_alu instid0(VALU_DEP_4) | instskip(NEXT) | instid1(VALU_DEP_1)
	v_cmp_ne_u32_e64 s0, 0, v1
	v_cndmask_b32_e64 v1, 0, 1, s0
	s_delay_alu instid0(VALU_DEP_1) | instskip(SKIP_1) | instid1(VALU_DEP_2)
	v_and_or_b32 v22, 0xffe, v3, v1
	v_sub_nc_u32_e32 v1, 0x3f1, v24
	v_or_b32_e32 v3, 0x1000, v22
	s_delay_alu instid0(VALU_DEP_2) | instskip(NEXT) | instid1(VALU_DEP_1)
	v_med3_i32 v1, v1, 0, 13
	v_lshrrev_b32_e32 v26, v1, v3
	s_delay_alu instid0(VALU_DEP_1) | instskip(NEXT) | instid1(VALU_DEP_1)
	v_lshlrev_b32_e32 v1, v1, v26
	v_cmp_ne_u32_e64 s2, v1, v3
	v_cvt_f32_f16_e32 v1, v6
	s_delay_alu instid0(VALU_DEP_1) | instskip(NEXT) | instid1(VALU_DEP_1)
	v_cvt_f64_f32_e32 v[1:2], v1
	v_mul_f64 v[2:3], v[1:2], s[10:11]
	s_delay_alu instid0(VALU_DEP_1) | instskip(SKIP_2) | instid1(VALU_DEP_3)
	v_and_or_b32 v1, 0x1ff, v3, v2
	v_lshrrev_b32_e32 v2, 8, v3
	v_bfe_u32 v28, v3, 20, 11
	v_cmp_ne_u32_e64 s0, 0, v1
	s_delay_alu instid0(VALU_DEP_1) | instskip(NEXT) | instid1(VALU_DEP_1)
	v_cndmask_b32_e64 v1, 0, 1, s0
	v_and_or_b32 v6, 0xffe, v2, v1
	s_delay_alu instid0(VALU_DEP_4) | instskip(NEXT) | instid1(VALU_DEP_2)
	v_sub_nc_u32_e32 v1, 0x3f1, v28
	v_or_b32_e32 v2, 0x1000, v6
	s_delay_alu instid0(VALU_DEP_2) | instskip(NEXT) | instid1(VALU_DEP_1)
	v_med3_i32 v1, v1, 0, 13
	v_lshrrev_b32_e32 v29, v1, v2
	s_delay_alu instid0(VALU_DEP_1) | instskip(NEXT) | instid1(VALU_DEP_1)
	v_lshlrev_b32_e32 v1, v1, v29
	v_cmp_ne_u32_e64 s0, v1, v2
	s_waitcnt vmcnt(0)
	v_mad_u64_u32 v[1:2], null, s8, v4, 0
	s_delay_alu instid0(VALU_DEP_1) | instskip(SKIP_1) | instid1(VALU_DEP_2)
	v_mad_u64_u32 v[10:11], null, s9, v4, v[2:3]
	v_lshrrev_b32_e32 v3, 16, v3
	v_mov_b32_e32 v2, v10
	ds_load_2addr_b32 v[10:11], v15 offset0:70 offset1:169
	v_lshlrev_b64 v[1:2], 2, v[1:2]
	s_waitcnt lgkmcnt(0)
	v_lshrrev_b32_e32 v4, 16, v10
	v_mul_f16_e32 v13, v7, v10
	s_delay_alu instid0(VALU_DEP_2) | instskip(NEXT) | instid1(VALU_DEP_2)
	v_mul_f16_e32 v7, v7, v4
	v_fma_f16 v20, v134, v4, -v13
	v_lshrrev_b32_e32 v13, 16, v132
	s_delay_alu instid0(VALU_DEP_3) | instskip(SKIP_1) | instid1(VALU_DEP_2)
	v_fmac_f16_e64 v7, v134, v10
	v_lshrrev_b32_e32 v10, 16, v11
	v_cvt_f32_f16_e32 v7, v7
	s_delay_alu instid0(VALU_DEP_2) | instskip(NEXT) | instid1(VALU_DEP_1)
	v_mul_f16_e32 v4, v13, v10
	v_fmac_f16_e64 v4, v132, v11
	v_mul_f16_e32 v11, v13, v11
	v_add_co_u32 v13, s1, s6, v8
	s_delay_alu instid0(VALU_DEP_1) | instskip(NEXT) | instid1(VALU_DEP_3)
	v_add_co_ci_u32_e64 v14, s1, s7, v9, s1
	v_fma_f16 v30, v132, v10, -v11
	s_delay_alu instid0(VALU_DEP_3) | instskip(SKIP_1) | instid1(VALU_DEP_4)
	v_add_co_u32 v8, s1, v13, v1
	v_cvt_f32_f16_e32 v1, v20
	v_add_co_ci_u32_e64 v9, s1, v14, v2, s1
	v_cvt_f32_f16_e32 v4, v4
	s_delay_alu instid0(VALU_DEP_3) | instskip(NEXT) | instid1(VALU_DEP_1)
	v_cvt_f64_f32_e32 v[1:2], v1
	v_mul_f64 v[1:2], v[1:2], s[10:11]
	s_delay_alu instid0(VALU_DEP_1) | instskip(SKIP_3) | instid1(VALU_DEP_4)
	v_and_or_b32 v1, 0x1ff, v2, v1
	v_lshrrev_b32_e32 v10, 8, v2
	v_bfe_u32 v11, v2, 20, 11
	v_lshrrev_b32_e32 v2, 16, v2
	v_cmp_ne_u32_e64 s1, 0, v1
	s_delay_alu instid0(VALU_DEP_1) | instskip(NEXT) | instid1(VALU_DEP_1)
	v_cndmask_b32_e64 v1, 0, 1, s1
	v_and_or_b32 v10, 0xffe, v10, v1
	v_sub_nc_u32_e32 v1, 0x3f1, v11
	s_delay_alu instid0(VALU_DEP_2) | instskip(NEXT) | instid1(VALU_DEP_2)
	v_or_b32_e32 v20, 0x1000, v10
	v_med3_i32 v1, v1, 0, 13
	s_delay_alu instid0(VALU_DEP_1) | instskip(NEXT) | instid1(VALU_DEP_1)
	v_lshrrev_b32_e32 v32, v1, v20
	v_lshlrev_b32_e32 v1, v1, v32
	s_delay_alu instid0(VALU_DEP_1) | instskip(SKIP_1) | instid1(VALU_DEP_1)
	v_cmp_ne_u32_e64 s1, v1, v20
	v_cvt_f32_f16_e32 v1, v5
	v_cvt_f64_f32_e32 v[20:21], v1
	s_delay_alu instid0(VALU_DEP_1) | instskip(NEXT) | instid1(VALU_DEP_1)
	v_mul_f64 v[20:21], v[20:21], s[10:11]
	v_and_or_b32 v1, 0x1ff, v21, v20
	v_lshrrev_b32_e32 v5, 8, v21
	s_delay_alu instid0(VALU_DEP_2) | instskip(NEXT) | instid1(VALU_DEP_1)
	v_cmp_ne_u32_e64 s3, 0, v1
	v_cndmask_b32_e64 v1, 0, 1, s3
	s_delay_alu instid0(VALU_DEP_1) | instskip(SKIP_1) | instid1(VALU_DEP_2)
	v_and_or_b32 v1, 0xffe, v5, v1
	v_bfe_u32 v5, v21, 20, 11
	v_or_b32_e32 v33, 0x1000, v1
	s_delay_alu instid0(VALU_DEP_2) | instskip(SKIP_1) | instid1(VALU_DEP_2)
	v_sub_nc_u32_e32 v20, 0x3f1, v5
	v_add_nc_u32_e32 v5, 0xfffffc10, v5
	v_med3_i32 v20, v20, 0, 13
	s_delay_alu instid0(VALU_DEP_1) | instskip(NEXT) | instid1(VALU_DEP_1)
	v_lshrrev_b32_e32 v34, v20, v33
	v_lshlrev_b32_e32 v20, v20, v34
	s_delay_alu instid0(VALU_DEP_1) | instskip(SKIP_1) | instid1(VALU_DEP_2)
	v_cmp_ne_u32_e64 s3, v20, v33
	v_lshl_or_b32 v33, v5, 12, v1
	v_cndmask_b32_e64 v20, 0, 1, s3
	v_cmp_gt_i32_e64 s3, 1, v5
	s_delay_alu instid0(VALU_DEP_2) | instskip(NEXT) | instid1(VALU_DEP_1)
	v_or_b32_e32 v20, v34, v20
	v_cndmask_b32_e64 v20, v33, v20, s3
	s_delay_alu instid0(VALU_DEP_1) | instskip(SKIP_1) | instid1(VALU_DEP_2)
	v_and_b32_e32 v33, 7, v20
	v_lshrrev_b32_e32 v20, 2, v20
	v_cmp_lt_i32_e64 s3, 5, v33
	v_cmp_eq_u32_e64 s4, 3, v33
	v_cndmask_b32_e64 v33, 0, 1, s2
	v_cmp_ne_u32_e64 s2, 0, v1
	v_add_nc_u32_e32 v1, 0xfffffc10, v24
	s_delay_alu instid0(VALU_DEP_4) | instskip(NEXT) | instid1(VALU_DEP_3)
	s_or_b32 s3, s4, s3
	v_or_b32_e32 v26, v26, v33
	v_add_co_ci_u32_e64 v20, s3, 0, v20, s3
	s_delay_alu instid0(VALU_DEP_3) | instskip(SKIP_3) | instid1(VALU_DEP_3)
	v_lshl_or_b32 v24, v1, 12, v22
	v_cmp_gt_i32_e64 s5, 1, v1
	v_cmp_gt_i32_e64 s3, 31, v5
	v_cmp_ne_u32_e64 s4, 0, v22
	v_cndmask_b32_e64 v24, v24, v26, s5
	v_cndmask_b32_e64 v26, 0, 1, s2
	s_delay_alu instid0(VALU_DEP_4) | instskip(SKIP_2) | instid1(VALU_DEP_4)
	v_cndmask_b32_e64 v20, 0x7c00, v20, s3
	v_cmp_eq_u32_e64 s2, 0x40f, v5
	v_cndmask_b32_e64 v22, 0, 1, s4
	v_lshl_or_b32 v26, v26, 9, 0x7c00
	s_delay_alu instid0(VALU_DEP_2) | instskip(NEXT) | instid1(VALU_DEP_2)
	v_lshl_or_b32 v22, v22, 9, 0x7c00
	v_cndmask_b32_e64 v5, v20, v26, s2
	v_and_b32_e32 v20, 7, v24
	s_delay_alu instid0(VALU_DEP_1) | instskip(SKIP_3) | instid1(VALU_DEP_3)
	v_cmp_lt_i32_e64 s2, 5, v20
	v_cmp_eq_u32_e64 s3, 3, v20
	v_lshrrev_b32_e32 v20, 16, v21
	v_lshrrev_b32_e32 v21, 2, v24
	s_or_b32 s2, s3, s2
	s_delay_alu instid0(VALU_DEP_2) | instskip(NEXT) | instid1(VALU_DEP_2)
	v_and_or_b32 v5, 0x8000, v20, v5
	v_add_co_ci_u32_e64 v21, s2, 0, v21, s2
	v_cmp_gt_i32_e64 s2, 31, v1
	s_mul_hi_u32 s3, s8, 0x63
	s_delay_alu instid0(VALU_DEP_3) | instskip(NEXT) | instid1(VALU_DEP_2)
	v_and_b32_e32 v5, 0xffff, v5
	v_cndmask_b32_e64 v21, 0x7c00, v21, s2
	v_cmp_eq_u32_e64 s2, 0x40f, v1
	s_delay_alu instid0(VALU_DEP_1) | instskip(SKIP_1) | instid1(SALU_CYCLE_1)
	v_cndmask_b32_e64 v1, v21, v22, s2
	s_mul_i32 s2, s9, 0x63
	s_add_i32 s3, s3, s2
	s_mul_i32 s2, s8, 0x63
	s_delay_alu instid0(VALU_DEP_1) | instskip(SKIP_1) | instid1(VALU_DEP_1)
	v_and_or_b32 v1, 0x8000, v12, v1
	s_lshl_b64 s[14:15], s[2:3], 2
	v_lshl_or_b32 v1, v1, 16, v5
	global_store_b32 v[8:9], v1, off
	v_cvt_f64_f32_e32 v[0:1], v0
	v_add_co_u32 v8, s2, v8, s14
	s_delay_alu instid0(VALU_DEP_1) | instskip(NEXT) | instid1(VALU_DEP_3)
	v_add_co_ci_u32_e64 v9, s2, s15, v9, s2
	v_mul_f64 v[0:1], v[0:1], s[10:11]
	s_delay_alu instid0(VALU_DEP_1) | instskip(SKIP_1) | instid1(VALU_DEP_2)
	v_and_or_b32 v0, 0x1ff, v1, v0
	v_lshrrev_b32_e32 v5, 8, v1
	v_cmp_ne_u32_e64 s2, 0, v0
	s_delay_alu instid0(VALU_DEP_1) | instskip(NEXT) | instid1(VALU_DEP_1)
	v_cndmask_b32_e64 v0, 0, 1, s2
	v_and_or_b32 v0, 0xffe, v5, v0
	v_bfe_u32 v5, v1, 20, 11
	v_lshrrev_b32_e32 v1, 16, v1
	s_delay_alu instid0(VALU_DEP_3) | instskip(NEXT) | instid1(VALU_DEP_3)
	v_or_b32_e32 v20, 0x1000, v0
	v_sub_nc_u32_e32 v12, 0x3f1, v5
	v_add_nc_u32_e32 v5, 0xfffffc10, v5
	v_cmp_ne_u32_e64 s3, 0, v0
	s_delay_alu instid0(VALU_DEP_3) | instskip(NEXT) | instid1(VALU_DEP_1)
	v_med3_i32 v12, v12, 0, 13
	v_lshrrev_b32_e32 v21, v12, v20
	s_delay_alu instid0(VALU_DEP_1) | instskip(NEXT) | instid1(VALU_DEP_1)
	v_lshlrev_b32_e32 v12, v12, v21
	v_cmp_ne_u32_e64 s2, v12, v20
	v_lshl_or_b32 v20, v5, 12, v0
	s_delay_alu instid0(VALU_DEP_2) | instskip(SKIP_1) | instid1(VALU_DEP_2)
	v_cndmask_b32_e64 v12, 0, 1, s2
	v_cmp_gt_i32_e64 s2, 1, v5
	v_or_b32_e32 v12, v21, v12
	v_add_nc_u32_e32 v21, 0xfffffc10, v28
	s_delay_alu instid0(VALU_DEP_2) | instskip(SKIP_1) | instid1(VALU_DEP_3)
	v_cndmask_b32_e64 v12, v20, v12, s2
	v_cndmask_b32_e64 v20, 0, 1, s0
	v_lshl_or_b32 v22, v21, 12, v6
	v_cmp_gt_i32_e64 s0, 1, v21
	s_delay_alu instid0(VALU_DEP_3) | instskip(NEXT) | instid1(VALU_DEP_1)
	v_or_b32_e32 v20, v29, v20
	v_cndmask_b32_e64 v20, v22, v20, s0
	v_and_b32_e32 v22, 7, v12
	s_delay_alu instid0(VALU_DEP_2) | instskip(NEXT) | instid1(VALU_DEP_2)
	v_and_b32_e32 v0, 7, v20
	v_cmp_lt_i32_e64 s0, 5, v22
	v_cmp_eq_u32_e64 s2, 3, v22
	ds_load_2addr_b32 v[22:23], v23 offset0:140 offset1:239
	v_cmp_lt_i32_e64 s4, 5, v0
	v_cmp_eq_u32_e64 s5, 3, v0
	v_lshrrev_b32_e32 v0, 2, v12
	s_or_b32 s0, s2, s0
	v_cndmask_b32_e64 v12, 0, 1, s3
	s_delay_alu instid0(VALU_DEP_3) | instskip(NEXT) | instid1(VALU_DEP_2)
	s_or_b32 s2, s5, s4
	v_add_co_ci_u32_e64 v0, s0, 0, v0, s0
	v_cmp_gt_i32_e64 s0, 31, v5
	s_delay_alu instid0(VALU_DEP_3) | instskip(NEXT) | instid1(VALU_DEP_2)
	v_lshl_or_b32 v12, v12, 9, 0x7c00
	v_cndmask_b32_e64 v0, 0x7c00, v0, s0
	v_cmp_eq_u32_e64 s0, 0x40f, v5
	v_lshrrev_b32_e32 v5, 2, v20
	s_delay_alu instid0(VALU_DEP_2) | instskip(SKIP_1) | instid1(VALU_DEP_3)
	v_cndmask_b32_e64 v0, v0, v12, s0
	v_cmp_ne_u32_e64 s0, 0, v6
	v_add_co_ci_u32_e64 v5, s2, 0, v5, s2
	v_cmp_gt_i32_e64 s2, 31, v21
	s_delay_alu instid0(VALU_DEP_4) | instskip(NEXT) | instid1(VALU_DEP_4)
	v_and_or_b32 v0, 0x8000, v1, v0
	v_cndmask_b32_e64 v6, 0, 1, s0
	v_cmp_eq_u32_e64 s0, 0x40f, v21
	s_waitcnt lgkmcnt(0)
	v_lshrrev_b32_e32 v12, 16, v23
	v_cndmask_b32_e64 v5, 0x7c00, v5, s2
	v_and_b32_e32 v0, 0xffff, v0
	v_lshl_or_b32 v6, v6, 9, 0x7c00
	s_delay_alu instid0(VALU_DEP_1) | instskip(SKIP_1) | instid1(VALU_DEP_1)
	v_cndmask_b32_e64 v5, v5, v6, s0
	v_add_co_u32 v20, s0, v8, s14
	v_add_co_ci_u32_e64 v21, s0, s15, v9, s0
	s_delay_alu instid0(VALU_DEP_3) | instskip(SKIP_1) | instid1(VALU_DEP_2)
	v_and_or_b32 v1, 0x8000, v3, v5
	v_lshrrev_b32_e32 v5, 16, v129
	v_lshl_or_b32 v0, v1, 16, v0
	global_store_b32 v[8:9], v0, off
	v_cvt_f32_f16_e32 v0, v30
	s_delay_alu instid0(VALU_DEP_1) | instskip(NEXT) | instid1(VALU_DEP_1)
	v_cvt_f64_f32_e32 v[0:1], v0
	v_mul_f64 v[0:1], v[0:1], s[10:11]
	s_delay_alu instid0(VALU_DEP_1) | instskip(SKIP_3) | instid1(VALU_DEP_4)
	v_and_or_b32 v0, 0x1ff, v1, v0
	v_lshrrev_b32_e32 v3, 8, v1
	v_bfe_u32 v8, v1, 20, 11
	v_lshrrev_b32_e32 v1, 16, v1
	v_cmp_ne_u32_e64 s0, 0, v0
	s_delay_alu instid0(VALU_DEP_1) | instskip(NEXT) | instid1(VALU_DEP_1)
	v_cndmask_b32_e64 v0, 0, 1, s0
	v_and_or_b32 v6, 0xffe, v3, v0
	v_sub_nc_u32_e32 v0, 0x3f1, v8
	v_add_nc_u32_e32 v8, 0xfffffc10, v8
	s_delay_alu instid0(VALU_DEP_3) | instskip(NEXT) | instid1(VALU_DEP_3)
	v_or_b32_e32 v3, 0x1000, v6
	v_med3_i32 v0, v0, 0, 13
	s_delay_alu instid0(VALU_DEP_1) | instskip(NEXT) | instid1(VALU_DEP_1)
	v_lshrrev_b32_e32 v9, v0, v3
	v_lshlrev_b32_e32 v0, v0, v9
	s_delay_alu instid0(VALU_DEP_1) | instskip(SKIP_2) | instid1(VALU_DEP_2)
	v_cmp_ne_u32_e64 s0, v0, v3
	v_lshrrev_b32_e32 v0, 16, v22
	v_mul_f16_e32 v3, v5, v22
	v_mul_f16_e32 v5, v5, v0
	s_delay_alu instid0(VALU_DEP_2) | instskip(NEXT) | instid1(VALU_DEP_2)
	v_fma_f16 v3, v129, v0, -v3
	v_fmac_f16_e64 v5, v129, v22
	v_lshrrev_b32_e32 v22, 16, v128
	s_delay_alu instid0(VALU_DEP_1) | instskip(SKIP_1) | instid1(VALU_DEP_2)
	v_mul_f16_e32 v0, v22, v12
	v_mul_f16_e32 v22, v22, v23
	v_fmac_f16_e64 v0, v128, v23
	s_delay_alu instid0(VALU_DEP_2) | instskip(SKIP_1) | instid1(VALU_DEP_3)
	v_fma_f16 v24, v128, v12, -v22
	v_cvt_f64_f32_e32 v[22:23], v7
	v_cvt_f32_f16_e32 v0, v0
	s_delay_alu instid0(VALU_DEP_2) | instskip(NEXT) | instid1(VALU_DEP_1)
	v_mul_f64 v[22:23], v[22:23], s[10:11]
	v_and_or_b32 v7, 0x1ff, v23, v22
	v_lshrrev_b32_e32 v12, 8, v23
	s_delay_alu instid0(VALU_DEP_2) | instskip(NEXT) | instid1(VALU_DEP_1)
	v_cmp_ne_u32_e64 s2, 0, v7
	v_cndmask_b32_e64 v7, 0, 1, s2
	s_delay_alu instid0(VALU_DEP_1) | instskip(SKIP_1) | instid1(VALU_DEP_2)
	v_and_or_b32 v7, 0xffe, v12, v7
	v_bfe_u32 v12, v23, 20, 11
	v_or_b32_e32 v26, 0x1000, v7
	s_delay_alu instid0(VALU_DEP_2) | instskip(SKIP_1) | instid1(VALU_DEP_2)
	v_sub_nc_u32_e32 v22, 0x3f1, v12
	v_add_nc_u32_e32 v12, 0xfffffc10, v12
	v_med3_i32 v22, v22, 0, 13
	s_delay_alu instid0(VALU_DEP_1) | instskip(NEXT) | instid1(VALU_DEP_1)
	v_lshrrev_b32_e32 v28, v22, v26
	v_lshlrev_b32_e32 v22, v22, v28
	s_delay_alu instid0(VALU_DEP_1) | instskip(SKIP_1) | instid1(VALU_DEP_2)
	v_cmp_ne_u32_e64 s2, v22, v26
	v_lshl_or_b32 v26, v12, 12, v7
	v_cndmask_b32_e64 v22, 0, 1, s2
	v_cmp_gt_i32_e64 s2, 1, v12
	s_delay_alu instid0(VALU_DEP_2) | instskip(NEXT) | instid1(VALU_DEP_1)
	v_or_b32_e32 v22, v28, v22
	v_cndmask_b32_e64 v22, v26, v22, s2
	s_delay_alu instid0(VALU_DEP_1) | instskip(SKIP_1) | instid1(VALU_DEP_2)
	v_and_b32_e32 v26, 7, v22
	v_lshrrev_b32_e32 v22, 2, v22
	v_cmp_lt_i32_e64 s2, 5, v26
	v_cmp_eq_u32_e64 s3, 3, v26
	v_cndmask_b32_e64 v26, 0, 1, s1
	v_cmp_ne_u32_e64 s1, 0, v7
	v_add_nc_u32_e32 v7, 0xfffffc10, v11
	s_delay_alu instid0(VALU_DEP_4) | instskip(NEXT) | instid1(VALU_DEP_3)
	s_or_b32 s2, s3, s2
	v_or_b32_e32 v26, v32, v26
	v_add_co_ci_u32_e64 v22, s2, 0, v22, s2
	s_delay_alu instid0(VALU_DEP_3) | instskip(SKIP_4) | instid1(VALU_DEP_4)
	v_lshl_or_b32 v11, v7, 12, v10
	v_cmp_gt_i32_e64 s4, 1, v7
	v_cmp_gt_i32_e64 s2, 31, v12
	v_cmp_ne_u32_e64 s3, 0, v10
	v_lshrrev_b32_e32 v32, 16, v124
	v_cndmask_b32_e64 v11, v11, v26, s4
	v_cndmask_b32_e64 v26, 0, 1, s1
	;; [unrolled: 1-line block ×3, first 2 shown]
	v_cmp_eq_u32_e64 s1, 0x40f, v12
	s_delay_alu instid0(VALU_DEP_4) | instskip(NEXT) | instid1(VALU_DEP_4)
	v_lshrrev_b32_e32 v10, 2, v11
	v_lshl_or_b32 v26, v26, 9, 0x7c00
	s_delay_alu instid0(VALU_DEP_1) | instskip(SKIP_3) | instid1(VALU_DEP_2)
	v_cndmask_b32_e64 v12, v22, v26, s1
	v_lshrrev_b32_e32 v22, 16, v23
	v_and_b32_e32 v23, 7, v11
	v_cndmask_b32_e64 v11, 0, 1, s3
	v_cmp_lt_i32_e64 s1, 5, v23
	v_cmp_eq_u32_e64 s2, 3, v23
	s_delay_alu instid0(VALU_DEP_3) | instskip(NEXT) | instid1(VALU_DEP_2)
	v_lshl_or_b32 v11, v11, 9, 0x7c00
	s_or_b32 s1, s2, s1
	s_delay_alu instid0(SALU_CYCLE_1) | instskip(SKIP_1) | instid1(VALU_DEP_1)
	v_add_co_ci_u32_e64 v10, s1, 0, v10, s1
	v_cmp_gt_i32_e64 s1, 31, v7
	v_cndmask_b32_e64 v10, 0x7c00, v10, s1
	v_cmp_eq_u32_e64 s1, 0x40f, v7
	s_delay_alu instid0(VALU_DEP_1) | instskip(SKIP_1) | instid1(VALU_DEP_2)
	v_cndmask_b32_e64 v7, v10, v11, s1
	v_and_or_b32 v10, 0x8000, v22, v12
	v_and_or_b32 v2, 0x8000, v2, v7
	s_delay_alu instid0(VALU_DEP_2) | instskip(NEXT) | instid1(VALU_DEP_1)
	v_and_b32_e32 v7, 0xffff, v10
	v_lshl_or_b32 v2, v2, 16, v7
	global_store_b32 v[20:21], v2, off
	v_cvt_f32_f16_e32 v2, v3
	v_add_co_u32 v20, s1, v20, s14
	s_delay_alu instid0(VALU_DEP_1) | instskip(NEXT) | instid1(VALU_DEP_3)
	v_add_co_ci_u32_e64 v21, s1, s15, v21, s1
	v_cvt_f64_f32_e32 v[2:3], v2
	s_delay_alu instid0(VALU_DEP_1) | instskip(NEXT) | instid1(VALU_DEP_1)
	v_mul_f64 v[11:12], v[2:3], s[10:11]
	v_and_or_b32 v2, 0x1ff, v12, v11
	v_lshrrev_b32_e32 v3, 8, v12
	v_bfe_u32 v28, v12, 20, 11
	s_delay_alu instid0(VALU_DEP_3) | instskip(NEXT) | instid1(VALU_DEP_1)
	v_cmp_ne_u32_e64 s1, 0, v2
	v_cndmask_b32_e64 v2, 0, 1, s1
	s_delay_alu instid0(VALU_DEP_1) | instskip(NEXT) | instid1(VALU_DEP_4)
	v_and_or_b32 v26, 0xffe, v3, v2
	v_sub_nc_u32_e32 v2, 0x3f1, v28
	s_delay_alu instid0(VALU_DEP_2) | instskip(NEXT) | instid1(VALU_DEP_2)
	v_or_b32_e32 v3, 0x1000, v26
	v_med3_i32 v2, v2, 0, 13
	s_delay_alu instid0(VALU_DEP_1) | instskip(NEXT) | instid1(VALU_DEP_1)
	v_lshrrev_b32_e32 v29, v2, v3
	v_lshlrev_b32_e32 v2, v2, v29
	s_delay_alu instid0(VALU_DEP_1) | instskip(SKIP_1) | instid1(VALU_DEP_1)
	v_cmp_ne_u32_e64 s2, v2, v3
	v_cvt_f32_f16_e32 v2, v24
	v_cvt_f64_f32_e32 v[2:3], v2
	s_delay_alu instid0(VALU_DEP_1) | instskip(NEXT) | instid1(VALU_DEP_1)
	v_mul_f64 v[2:3], v[2:3], s[10:11]
	v_and_or_b32 v2, 0x1ff, v3, v2
	v_lshrrev_b32_e32 v7, 8, v3
	v_bfe_u32 v10, v3, 20, 11
	v_lshrrev_b32_e32 v3, 16, v3
	s_delay_alu instid0(VALU_DEP_4) | instskip(NEXT) | instid1(VALU_DEP_1)
	v_cmp_ne_u32_e64 s1, 0, v2
	v_cndmask_b32_e64 v2, 0, 1, s1
	s_delay_alu instid0(VALU_DEP_1) | instskip(SKIP_2) | instid1(VALU_DEP_3)
	v_and_or_b32 v2, 0xffe, v7, v2
	v_sub_nc_u32_e32 v7, 0x3f1, v10
	v_add_nc_u32_e32 v10, 0xfffffc10, v10
	v_or_b32_e32 v22, 0x1000, v2
	s_delay_alu instid0(VALU_DEP_3) | instskip(SKIP_1) | instid1(VALU_DEP_2)
	v_med3_i32 v7, v7, 0, 13
	v_cmp_ne_u32_e64 s7, 0, v2
	v_lshrrev_b32_e32 v11, v7, v22
	s_delay_alu instid0(VALU_DEP_1) | instskip(NEXT) | instid1(VALU_DEP_1)
	v_lshlrev_b32_e32 v7, v7, v11
	v_cmp_ne_u32_e64 s1, v7, v22
	ds_load_2addr_b32 v[22:23], v31 offset0:82 offset1:181
	v_lshrrev_b32_e32 v7, 16, v125
	s_waitcnt lgkmcnt(0)
	v_lshrrev_b32_e32 v24, 16, v22
	s_delay_alu instid0(VALU_DEP_2) | instskip(NEXT) | instid1(VALU_DEP_2)
	v_mul_f16_e32 v30, v7, v22
	v_mul_f16_e32 v7, v7, v24
	s_delay_alu instid0(VALU_DEP_2) | instskip(NEXT) | instid1(VALU_DEP_2)
	v_fma_f16 v24, v125, v24, -v30
	v_fmac_f16_e32 v7, v125, v22
	v_lshrrev_b32_e32 v22, 16, v23
	s_delay_alu instid0(VALU_DEP_2) | instskip(NEXT) | instid1(VALU_DEP_2)
	v_cvt_f32_f16_e32 v7, v7
	v_mul_f16_e32 v30, v32, v22
	v_mul_f16_e32 v32, v32, v23
	s_delay_alu instid0(VALU_DEP_2) | instskip(NEXT) | instid1(VALU_DEP_2)
	v_fmac_f16_e32 v30, v124, v23
	v_fma_f16 v32, v124, v22, -v32
	v_cvt_f64_f32_e32 v[22:23], v4
	s_delay_alu instid0(VALU_DEP_1) | instskip(NEXT) | instid1(VALU_DEP_1)
	v_mul_f64 v[22:23], v[22:23], s[10:11]
	v_and_or_b32 v4, 0x1ff, v23, v22
	v_lshrrev_b32_e32 v22, 8, v23
	s_delay_alu instid0(VALU_DEP_2) | instskip(NEXT) | instid1(VALU_DEP_1)
	v_cmp_ne_u32_e64 s3, 0, v4
	v_cndmask_b32_e64 v4, 0, 1, s3
	s_delay_alu instid0(VALU_DEP_1) | instskip(SKIP_1) | instid1(VALU_DEP_2)
	v_and_or_b32 v4, 0xffe, v22, v4
	v_bfe_u32 v22, v23, 20, 11
	v_or_b32_e32 v34, 0x1000, v4
	s_delay_alu instid0(VALU_DEP_2) | instskip(SKIP_2) | instid1(VALU_DEP_3)
	v_sub_nc_u32_e32 v33, 0x3f1, v22
	v_add_nc_u32_e32 v22, 0xfffffc10, v22
	v_cmp_ne_u32_e64 s4, 0, v4
	v_med3_i32 v33, v33, 0, 13
	s_delay_alu instid0(VALU_DEP_1) | instskip(NEXT) | instid1(VALU_DEP_1)
	v_lshrrev_b32_e32 v36, v33, v34
	v_lshlrev_b32_e32 v33, v33, v36
	s_delay_alu instid0(VALU_DEP_1) | instskip(SKIP_1) | instid1(VALU_DEP_2)
	v_cmp_ne_u32_e64 s3, v33, v34
	v_lshl_or_b32 v34, v22, 12, v4
	v_cndmask_b32_e64 v33, 0, 1, s3
	v_cmp_gt_i32_e64 s3, 1, v22
	s_delay_alu instid0(VALU_DEP_2) | instskip(NEXT) | instid1(VALU_DEP_1)
	v_or_b32_e32 v33, v36, v33
	v_cndmask_b32_e64 v33, v34, v33, s3
	v_cndmask_b32_e64 v34, 0, 1, s0
	v_cmp_gt_i32_e64 s0, 1, v8
	s_delay_alu instid0(VALU_DEP_2) | instskip(SKIP_1) | instid1(VALU_DEP_1)
	v_or_b32_e32 v9, v9, v34
	v_lshl_or_b32 v34, v8, 12, v6
	v_cndmask_b32_e64 v9, v34, v9, s0
	v_and_b32_e32 v34, 7, v33
	s_delay_alu instid0(VALU_DEP_2) | instskip(NEXT) | instid1(VALU_DEP_2)
	v_and_b32_e32 v4, 7, v9
	v_cmp_lt_i32_e64 s0, 5, v34
	v_cmp_eq_u32_e64 s3, 3, v34
	v_lshrrev_b32_e32 v9, 2, v9
	s_delay_alu instid0(VALU_DEP_4) | instskip(SKIP_4) | instid1(VALU_DEP_3)
	v_cmp_lt_i32_e64 s5, 5, v4
	v_cmp_eq_u32_e64 s6, 3, v4
	v_lshrrev_b32_e32 v4, 2, v33
	s_or_b32 s0, s3, s0
	v_cndmask_b32_e64 v33, 0, 1, s4
	s_or_b32 s3, s6, s5
	s_delay_alu instid0(VALU_DEP_2) | instskip(SKIP_1) | instid1(VALU_DEP_3)
	v_add_co_ci_u32_e64 v4, s0, 0, v4, s0
	v_cmp_gt_i32_e64 s0, 31, v22
	v_lshl_or_b32 v33, v33, 9, 0x7c00
	v_add_co_ci_u32_e64 v9, s3, 0, v9, s3
	v_cmp_gt_i32_e64 s3, 31, v8
	s_delay_alu instid0(VALU_DEP_4) | instskip(SKIP_1) | instid1(VALU_DEP_3)
	v_cndmask_b32_e64 v4, 0x7c00, v4, s0
	v_cmp_eq_u32_e64 s0, 0x40f, v22
	v_cndmask_b32_e64 v9, 0x7c00, v9, s3
	s_delay_alu instid0(VALU_DEP_2) | instskip(SKIP_2) | instid1(VALU_DEP_2)
	v_cndmask_b32_e64 v4, v4, v33, s0
	v_cmp_ne_u32_e64 s0, 0, v6
	v_lshrrev_b32_e32 v6, 16, v23
	v_cndmask_b32_e64 v22, 0, 1, s0
	v_cmp_eq_u32_e64 s0, 0x40f, v8
	s_delay_alu instid0(VALU_DEP_3) | instskip(NEXT) | instid1(VALU_DEP_3)
	v_and_or_b32 v4, 0x8000, v6, v4
	v_lshl_or_b32 v22, v22, 9, 0x7c00
	s_delay_alu instid0(VALU_DEP_2) | instskip(NEXT) | instid1(VALU_DEP_2)
	v_and_b32_e32 v4, 0xffff, v4
	v_cndmask_b32_e64 v8, v9, v22, s0
	s_delay_alu instid0(VALU_DEP_1) | instskip(SKIP_1) | instid1(VALU_DEP_1)
	v_and_or_b32 v1, 0x8000, v1, v8
	v_add_co_u32 v8, s0, v20, s14
	v_add_co_ci_u32_e64 v9, s0, s15, v21, s0
	s_delay_alu instid0(VALU_DEP_3) | instskip(SKIP_2) | instid1(VALU_DEP_1)
	v_lshl_or_b32 v1, v1, 16, v4
	global_store_b32 v[20:21], v1, off
	v_cvt_f32_f16_e32 v1, v5
	v_cvt_f64_f32_e32 v[4:5], v1
	s_delay_alu instid0(VALU_DEP_1) | instskip(NEXT) | instid1(VALU_DEP_1)
	v_mul_f64 v[4:5], v[4:5], s[10:11]
	v_and_or_b32 v1, 0x1ff, v5, v4
	v_lshrrev_b32_e32 v4, 8, v5
	s_delay_alu instid0(VALU_DEP_2) | instskip(NEXT) | instid1(VALU_DEP_1)
	v_cmp_ne_u32_e64 s0, 0, v1
	v_cndmask_b32_e64 v1, 0, 1, s0
	s_delay_alu instid0(VALU_DEP_1) | instskip(SKIP_2) | instid1(VALU_DEP_3)
	v_and_or_b32 v1, 0xffe, v4, v1
	v_bfe_u32 v4, v5, 20, 11
	v_lshrrev_b32_e32 v5, 16, v5
	v_or_b32_e32 v20, 0x1000, v1
	s_delay_alu instid0(VALU_DEP_3) | instskip(SKIP_2) | instid1(VALU_DEP_3)
	v_sub_nc_u32_e32 v6, 0x3f1, v4
	v_add_nc_u32_e32 v4, 0xfffffc10, v4
	v_cmp_ne_u32_e64 s4, 0, v1
	v_med3_i32 v6, v6, 0, 13
	s_delay_alu instid0(VALU_DEP_1) | instskip(NEXT) | instid1(VALU_DEP_1)
	v_lshrrev_b32_e32 v21, v6, v20
	v_lshlrev_b32_e32 v6, v6, v21
	s_delay_alu instid0(VALU_DEP_1) | instskip(SKIP_2) | instid1(VALU_DEP_3)
	v_cmp_ne_u32_e64 s0, v6, v20
	v_lshl_or_b32 v20, v4, 12, v1
	v_cndmask_b32_e64 v1, 0, 1, s2
	v_cndmask_b32_e64 v6, 0, 1, s0
	v_cmp_gt_i32_e64 s0, 1, v4
	s_delay_alu instid0(VALU_DEP_3) | instskip(NEXT) | instid1(VALU_DEP_3)
	v_or_b32_e32 v1, v29, v1
	v_or_b32_e32 v6, v21, v6
	s_delay_alu instid0(VALU_DEP_1) | instskip(NEXT) | instid1(VALU_DEP_1)
	v_cndmask_b32_e64 v6, v20, v6, s0
	v_and_b32_e32 v20, 7, v6
	v_lshrrev_b32_e32 v6, 2, v6
	s_delay_alu instid0(VALU_DEP_2) | instskip(SKIP_2) | instid1(VALU_DEP_2)
	v_cmp_lt_i32_e64 s0, 5, v20
	v_cmp_eq_u32_e64 s3, 3, v20
	v_add_nc_u32_e32 v20, 0xfffffc10, v28
	s_or_b32 s0, s3, s0
	s_delay_alu instid0(VALU_DEP_1) | instskip(SKIP_4) | instid1(VALU_DEP_4)
	v_lshl_or_b32 v21, v20, 12, v26
	v_cmp_gt_i32_e64 s2, 1, v20
	v_add_co_ci_u32_e64 v6, s0, 0, v6, s0
	v_cmp_gt_i32_e64 s0, 31, v4
	v_cmp_ne_u32_e64 s3, 0, v26
	v_cndmask_b32_e64 v1, v21, v1, s2
	v_cndmask_b32_e64 v21, 0, 1, s4
	s_delay_alu instid0(VALU_DEP_4) | instskip(SKIP_1) | instid1(VALU_DEP_3)
	v_cndmask_b32_e64 v6, 0x7c00, v6, s0
	v_cmp_eq_u32_e64 s0, 0x40f, v4
	v_lshl_or_b32 v21, v21, 9, 0x7c00
	s_delay_alu instid0(VALU_DEP_1) | instskip(SKIP_2) | instid1(VALU_DEP_2)
	v_cndmask_b32_e64 v4, v6, v21, s0
	v_and_b32_e32 v6, 7, v1
	v_lshrrev_b32_e32 v1, 2, v1
	v_cmp_lt_i32_e64 s0, 5, v6
	v_cmp_eq_u32_e64 s2, 3, v6
	v_cndmask_b32_e64 v6, 0, 1, s3
	s_delay_alu instid0(VALU_DEP_2) | instskip(NEXT) | instid1(VALU_DEP_1)
	s_or_b32 s0, s2, s0
	v_lshl_or_b32 v6, v6, 9, 0x7c00
	v_add_co_ci_u32_e64 v1, s0, 0, v1, s0
	v_cmp_gt_i32_e64 s0, 31, v20
	s_delay_alu instid0(VALU_DEP_1) | instskip(SKIP_1) | instid1(VALU_DEP_1)
	v_cndmask_b32_e64 v1, 0x7c00, v1, s0
	v_cmp_eq_u32_e64 s0, 0x40f, v20
	v_cndmask_b32_e64 v1, v1, v6, s0
	v_lshrrev_b32_e32 v6, 16, v12
	v_and_or_b32 v12, 0x8000, v5, v4
	v_cvt_f32_f16_e32 v4, v24
	s_delay_alu instid0(VALU_DEP_3) | instskip(NEXT) | instid1(VALU_DEP_2)
	v_and_or_b32 v1, 0x8000, v6, v1
	v_cvt_f64_f32_e32 v[4:5], v4
	s_delay_alu instid0(VALU_DEP_1) | instskip(SKIP_1) | instid1(VALU_DEP_1)
	v_mul_f64 v[21:22], v[4:5], s[10:11]
	v_and_b32_e32 v4, 0xffff, v12
	v_lshl_or_b32 v1, v1, 16, v4
	global_store_b32 v[8:9], v1, off
	v_add_co_u32 v8, s0, v8, s14
	s_delay_alu instid0(VALU_DEP_1) | instskip(SKIP_4) | instid1(VALU_DEP_4)
	v_add_co_ci_u32_e64 v9, s0, s15, v9, s0
	v_and_or_b32 v1, 0x1ff, v22, v21
	v_lshrrev_b32_e32 v4, 8, v22
	v_bfe_u32 v33, v22, 20, 11
	v_lshrrev_b32_e32 v22, 16, v22
	v_cmp_ne_u32_e64 s0, 0, v1
	s_delay_alu instid0(VALU_DEP_1) | instskip(NEXT) | instid1(VALU_DEP_1)
	v_cndmask_b32_e64 v1, 0, 1, s0
	v_and_or_b32 v26, 0xffe, v4, v1
	v_sub_nc_u32_e32 v1, 0x3f1, v33
	s_delay_alu instid0(VALU_DEP_2) | instskip(NEXT) | instid1(VALU_DEP_2)
	v_or_b32_e32 v4, 0x1000, v26
	v_med3_i32 v1, v1, 0, 13
	s_delay_alu instid0(VALU_DEP_1) | instskip(NEXT) | instid1(VALU_DEP_1)
	v_lshrrev_b32_e32 v34, v1, v4
	v_lshlrev_b32_e32 v1, v1, v34
	s_delay_alu instid0(VALU_DEP_1) | instskip(SKIP_1) | instid1(VALU_DEP_1)
	v_cmp_ne_u32_e64 s3, v1, v4
	v_cvt_f32_f16_e32 v1, v30
	v_cvt_f64_f32_e32 v[4:5], v1
	s_delay_alu instid0(VALU_DEP_1) | instskip(NEXT) | instid1(VALU_DEP_1)
	v_mul_f64 v[5:6], v[4:5], s[10:11]
	v_and_or_b32 v1, 0x1ff, v6, v5
	v_lshrrev_b32_e32 v4, 8, v6
	v_bfe_u32 v30, v6, 20, 11
	v_lshrrev_b32_e32 v6, 16, v6
	s_delay_alu instid0(VALU_DEP_4) | instskip(NEXT) | instid1(VALU_DEP_1)
	v_cmp_ne_u32_e64 s0, 0, v1
	v_cndmask_b32_e64 v1, 0, 1, s0
	s_delay_alu instid0(VALU_DEP_1) | instskip(SKIP_1) | instid1(VALU_DEP_2)
	v_and_or_b32 v12, 0xffe, v4, v1
	v_sub_nc_u32_e32 v1, 0x3f1, v30
	v_or_b32_e32 v4, 0x1000, v12
	s_delay_alu instid0(VALU_DEP_2) | instskip(NEXT) | instid1(VALU_DEP_1)
	v_med3_i32 v1, v1, 0, 13
	v_lshrrev_b32_e32 v36, v1, v4
	s_delay_alu instid0(VALU_DEP_1) | instskip(NEXT) | instid1(VALU_DEP_1)
	v_lshlrev_b32_e32 v1, v1, v36
	v_cmp_ne_u32_e64 s2, v1, v4
	v_cvt_f64_f32_e32 v[0:1], v0
	s_delay_alu instid0(VALU_DEP_1) | instskip(NEXT) | instid1(VALU_DEP_1)
	v_mul_f64 v[0:1], v[0:1], s[10:11]
	v_and_or_b32 v0, 0x1ff, v1, v0
	v_lshrrev_b32_e32 v4, 8, v1
	s_delay_alu instid0(VALU_DEP_2) | instskip(NEXT) | instid1(VALU_DEP_1)
	v_cmp_ne_u32_e64 s0, 0, v0
	v_cndmask_b32_e64 v0, 0, 1, s0
	s_delay_alu instid0(VALU_DEP_1) | instskip(SKIP_2) | instid1(VALU_DEP_3)
	v_and_or_b32 v0, 0xffe, v4, v0
	v_bfe_u32 v4, v1, 20, 11
	v_lshrrev_b32_e32 v1, 16, v1
	v_or_b32_e32 v20, 0x1000, v0
	s_delay_alu instid0(VALU_DEP_3) | instskip(SKIP_2) | instid1(VALU_DEP_3)
	v_sub_nc_u32_e32 v5, 0x3f1, v4
	v_add_nc_u32_e32 v4, 0xfffffc10, v4
	v_cmp_ne_u32_e64 s4, 0, v0
	v_med3_i32 v5, v5, 0, 13
	s_delay_alu instid0(VALU_DEP_1) | instskip(NEXT) | instid1(VALU_DEP_1)
	v_lshrrev_b32_e32 v21, v5, v20
	v_lshlrev_b32_e32 v5, v5, v21
	s_delay_alu instid0(VALU_DEP_1) | instskip(SKIP_1) | instid1(VALU_DEP_2)
	v_cmp_ne_u32_e64 s0, v5, v20
	v_lshl_or_b32 v20, v4, 12, v0
	v_cndmask_b32_e64 v5, 0, 1, s0
	v_cmp_gt_i32_e64 s0, 1, v4
	s_delay_alu instid0(VALU_DEP_2) | instskip(NEXT) | instid1(VALU_DEP_1)
	v_or_b32_e32 v5, v21, v5
	v_cndmask_b32_e64 v5, v20, v5, s0
	v_cndmask_b32_e64 v20, 0, 1, s1
	v_cmp_gt_i32_e64 s0, 1, v10
	s_delay_alu instid0(VALU_DEP_2) | instskip(SKIP_2) | instid1(VALU_DEP_2)
	v_or_b32_e32 v11, v11, v20
	v_lshl_or_b32 v20, v10, 12, v2
	v_cndmask_b32_e64 v2, 0, 1, s4
	v_cndmask_b32_e64 v11, v20, v11, s0
	v_and_b32_e32 v20, 7, v5
	s_delay_alu instid0(VALU_DEP_3) | instskip(NEXT) | instid1(VALU_DEP_3)
	v_lshl_or_b32 v2, v2, 9, 0x7c00
	v_and_b32_e32 v0, 7, v11
	s_delay_alu instid0(VALU_DEP_3) | instskip(SKIP_1) | instid1(VALU_DEP_3)
	v_cmp_lt_i32_e64 s0, 5, v20
	v_cmp_eq_u32_e64 s1, 3, v20
	v_cmp_lt_i32_e64 s5, 5, v0
	v_cmp_eq_u32_e64 s6, 3, v0
	v_lshrrev_b32_e32 v0, 2, v5
	s_delay_alu instid0(VALU_DEP_4)
	s_or_b32 s0, s1, s0
	s_delay_alu instid0(VALU_DEP_1) | instid1(SALU_CYCLE_1)
	v_add_co_ci_u32_e64 v0, s0, 0, v0, s0
	v_cmp_gt_i32_e64 s0, 31, v4
	s_delay_alu instid0(VALU_DEP_1) | instskip(SKIP_2) | instid1(VALU_DEP_2)
	v_cndmask_b32_e64 v0, 0x7c00, v0, s0
	v_cmp_eq_u32_e64 s0, 0x40f, v4
	v_cndmask_b32_e64 v4, 0, 1, s7
	v_cndmask_b32_e64 v0, v0, v2, s0
	v_lshrrev_b32_e32 v2, 2, v11
	s_or_b32 s0, s6, s5
	s_delay_alu instid0(VALU_DEP_3) | instskip(NEXT) | instid1(VALU_DEP_3)
	v_lshl_or_b32 v4, v4, 9, 0x7c00
	v_and_or_b32 v0, 0x8000, v1, v0
	s_delay_alu instid0(VALU_DEP_3) | instskip(SKIP_1) | instid1(VALU_DEP_3)
	v_add_co_ci_u32_e64 v2, s0, 0, v2, s0
	v_cmp_gt_i32_e64 s0, 31, v10
	v_and_b32_e32 v0, 0xffff, v0
	s_delay_alu instid0(VALU_DEP_2) | instskip(SKIP_1) | instid1(VALU_DEP_1)
	v_cndmask_b32_e64 v2, 0x7c00, v2, s0
	v_cmp_eq_u32_e64 s0, 0x40f, v10
	v_cndmask_b32_e64 v2, v2, v4, s0
	s_delay_alu instid0(VALU_DEP_1) | instskip(SKIP_1) | instid1(VALU_DEP_1)
	v_and_or_b32 v1, 0x8000, v3, v2
	v_add_co_u32 v2, s0, v8, s14
	v_add_co_ci_u32_e64 v3, s0, s15, v9, s0
	s_delay_alu instid0(VALU_DEP_3) | instskip(SKIP_3) | instid1(VALU_DEP_2)
	v_lshl_or_b32 v0, v1, 16, v0
	global_store_b32 v[8:9], v0, off
	v_cvt_f32_f16_e32 v0, v32
	v_lshrrev_b32_e32 v8, 16, v121
	v_cvt_f64_f32_e32 v[0:1], v0
	s_delay_alu instid0(VALU_DEP_1) | instskip(NEXT) | instid1(VALU_DEP_1)
	v_mul_f64 v[23:24], v[0:1], s[10:11]
	v_and_or_b32 v0, 0x1ff, v24, v23
	v_lshrrev_b32_e32 v1, 8, v24
	v_bfe_u32 v32, v24, 20, 11
	s_delay_alu instid0(VALU_DEP_3) | instskip(NEXT) | instid1(VALU_DEP_1)
	v_cmp_ne_u32_e64 s0, 0, v0
	v_cndmask_b32_e64 v0, 0, 1, s0
	s_delay_alu instid0(VALU_DEP_1) | instskip(NEXT) | instid1(VALU_DEP_4)
	v_and_or_b32 v23, 0xffe, v1, v0
	v_sub_nc_u32_e32 v0, 0x3f1, v32
	s_delay_alu instid0(VALU_DEP_2) | instskip(NEXT) | instid1(VALU_DEP_2)
	v_or_b32_e32 v1, 0x1000, v23
	v_med3_i32 v0, v0, 0, 13
	s_delay_alu instid0(VALU_DEP_1) | instskip(NEXT) | instid1(VALU_DEP_1)
	v_lshrrev_b32_e32 v37, v0, v1
	v_lshlrev_b32_e32 v0, v0, v37
	s_delay_alu instid0(VALU_DEP_1) | instskip(SKIP_4) | instid1(VALU_DEP_2)
	v_cmp_ne_u32_e64 s4, v0, v1
	ds_load_2addr_b32 v[0:1], v40 offset0:24 offset1:123
	s_waitcnt lgkmcnt(0)
	v_lshrrev_b32_e32 v4, 16, v0
	v_mul_f16_e32 v5, v8, v0
	v_mul_f16_e32 v8, v8, v4
	s_delay_alu instid0(VALU_DEP_2) | instskip(SKIP_1) | instid1(VALU_DEP_3)
	v_fma_f16 v4, v121, v4, -v5
	v_lshrrev_b32_e32 v5, 16, v120
	v_fmac_f16_e32 v8, v121, v0
	v_lshrrev_b32_e32 v0, 16, v1
	s_delay_alu instid0(VALU_DEP_1) | instskip(SKIP_1) | instid1(VALU_DEP_2)
	v_mul_f16_e32 v10, v5, v0
	v_mul_f16_e32 v5, v5, v1
	v_fmac_f16_e32 v10, v120, v1
	s_delay_alu instid0(VALU_DEP_2) | instskip(SKIP_1) | instid1(VALU_DEP_1)
	v_fma_f16 v11, v120, v0, -v5
	v_cvt_f32_f16_e32 v0, v4
	v_cvt_f64_f32_e32 v[0:1], v0
	s_delay_alu instid0(VALU_DEP_1) | instskip(NEXT) | instid1(VALU_DEP_1)
	v_mul_f64 v[4:5], v[0:1], s[10:11]
	v_and_or_b32 v0, 0x1ff, v5, v4
	v_lshrrev_b32_e32 v1, 8, v5
	v_bfe_u32 v9, v5, 20, 11
	v_lshrrev_b32_e32 v5, 16, v5
	s_delay_alu instid0(VALU_DEP_4) | instskip(NEXT) | instid1(VALU_DEP_1)
	v_cmp_ne_u32_e64 s0, 0, v0
	v_cndmask_b32_e64 v0, 0, 1, s0
	s_delay_alu instid0(VALU_DEP_1) | instskip(SKIP_2) | instid1(VALU_DEP_3)
	v_and_or_b32 v4, 0xffe, v1, v0
	v_sub_nc_u32_e32 v0, 0x3f1, v9
	v_add_nc_u32_e32 v9, 0xfffffc10, v9
	v_or_b32_e32 v1, 0x1000, v4
	s_delay_alu instid0(VALU_DEP_3) | instskip(NEXT) | instid1(VALU_DEP_1)
	v_med3_i32 v0, v0, 0, 13
	v_lshrrev_b32_e32 v20, v0, v1
	s_delay_alu instid0(VALU_DEP_1) | instskip(NEXT) | instid1(VALU_DEP_1)
	v_lshlrev_b32_e32 v0, v0, v20
	v_cmp_ne_u32_e64 s1, v0, v1
	v_cvt_f32_f16_e32 v0, v10
	s_delay_alu instid0(VALU_DEP_1) | instskip(NEXT) | instid1(VALU_DEP_1)
	v_cvt_f64_f32_e32 v[0:1], v0
	v_mul_f64 v[0:1], v[0:1], s[10:11]
	s_delay_alu instid0(VALU_DEP_1) | instskip(SKIP_1) | instid1(VALU_DEP_2)
	v_and_or_b32 v0, 0x1ff, v1, v0
	v_lshrrev_b32_e32 v10, 8, v1
	v_cmp_ne_u32_e64 s0, 0, v0
	s_delay_alu instid0(VALU_DEP_1) | instskip(NEXT) | instid1(VALU_DEP_1)
	v_cndmask_b32_e64 v0, 0, 1, s0
	v_and_or_b32 v0, 0xffe, v10, v0
	v_bfe_u32 v10, v1, 20, 11
	v_lshrrev_b32_e32 v1, 16, v1
	s_delay_alu instid0(VALU_DEP_3) | instskip(NEXT) | instid1(VALU_DEP_3)
	v_or_b32_e32 v29, 0x1000, v0
	v_sub_nc_u32_e32 v21, 0x3f1, v10
	s_delay_alu instid0(VALU_DEP_1) | instskip(NEXT) | instid1(VALU_DEP_1)
	v_med3_i32 v28, v21, 0, 13
	v_lshrrev_b32_e32 v21, v28, v29
	s_delay_alu instid0(VALU_DEP_1) | instskip(NEXT) | instid1(VALU_DEP_1)
	v_lshlrev_b32_e32 v28, v28, v21
	v_cmp_ne_u32_e64 s0, v28, v29
	v_cvt_f64_f32_e32 v[28:29], v7
	s_delay_alu instid0(VALU_DEP_1) | instskip(NEXT) | instid1(VALU_DEP_1)
	v_mul_f64 v[28:29], v[28:29], s[10:11]
	v_and_or_b32 v7, 0x1ff, v29, v28
	v_lshrrev_b32_e32 v28, 8, v29
	s_delay_alu instid0(VALU_DEP_2) | instskip(NEXT) | instid1(VALU_DEP_1)
	v_cmp_ne_u32_e64 s5, 0, v7
	v_cndmask_b32_e64 v7, 0, 1, s5
	s_delay_alu instid0(VALU_DEP_1) | instskip(SKIP_2) | instid1(VALU_DEP_3)
	v_and_or_b32 v7, 0xffe, v28, v7
	v_bfe_u32 v28, v29, 20, 11
	v_lshrrev_b32_e32 v29, 16, v29
	v_or_b32_e32 v41, 0x1000, v7
	s_delay_alu instid0(VALU_DEP_3) | instskip(SKIP_1) | instid1(VALU_DEP_2)
	v_sub_nc_u32_e32 v38, 0x3f1, v28
	v_add_nc_u32_e32 v28, 0xfffffc10, v28
	v_med3_i32 v38, v38, 0, 13
	s_delay_alu instid0(VALU_DEP_1) | instskip(NEXT) | instid1(VALU_DEP_1)
	v_lshrrev_b32_e32 v42, v38, v41
	v_lshlrev_b32_e32 v38, v38, v42
	s_delay_alu instid0(VALU_DEP_1) | instskip(SKIP_1) | instid1(VALU_DEP_2)
	v_cmp_ne_u32_e64 s5, v38, v41
	v_lshl_or_b32 v41, v28, 12, v7
	v_cndmask_b32_e64 v38, 0, 1, s5
	v_cmp_gt_i32_e64 s5, 1, v28
	s_delay_alu instid0(VALU_DEP_2) | instskip(NEXT) | instid1(VALU_DEP_1)
	v_or_b32_e32 v38, v42, v38
	v_cndmask_b32_e64 v38, v41, v38, s5
	s_delay_alu instid0(VALU_DEP_1) | instskip(NEXT) | instid1(VALU_DEP_1)
	v_and_b32_e32 v41, 7, v38
	v_cmp_lt_i32_e64 s5, 5, v41
	v_cmp_eq_u32_e64 s6, 3, v41
	v_cndmask_b32_e64 v41, 0, 1, s3
	v_cmp_ne_u32_e64 s3, 0, v7
	v_add_nc_u32_e32 v7, 0xfffffc10, v33
	s_delay_alu instid0(VALU_DEP_4) | instskip(NEXT) | instid1(VALU_DEP_3)
	s_or_b32 s5, s6, s5
	v_or_b32_e32 v34, v34, v41
	v_cmp_ne_u32_e64 s6, 0, v26
	s_delay_alu instid0(VALU_DEP_3) | instskip(SKIP_1) | instid1(VALU_DEP_1)
	v_lshl_or_b32 v33, v7, 12, v26
	v_cmp_gt_i32_e64 s7, 1, v7
	v_cndmask_b32_e64 v33, v33, v34, s7
	v_lshrrev_b32_e32 v34, 2, v38
	v_cndmask_b32_e64 v38, 0, 1, s3
	v_cmp_eq_u32_e64 s3, 0x40f, v28
	s_delay_alu instid0(VALU_DEP_4) | instskip(NEXT) | instid1(VALU_DEP_4)
	v_lshrrev_b32_e32 v26, 2, v33
	v_add_co_ci_u32_e64 v34, s5, 0, v34, s5
	v_cmp_gt_i32_e64 s5, 31, v28
	v_lshl_or_b32 v38, v38, 9, 0x7c00
	s_delay_alu instid0(VALU_DEP_2) | instskip(NEXT) | instid1(VALU_DEP_1)
	v_cndmask_b32_e64 v34, 0x7c00, v34, s5
	v_cndmask_b32_e64 v28, v34, v38, s3
	v_and_b32_e32 v34, 7, v33
	v_cndmask_b32_e64 v33, 0, 1, s6
	s_delay_alu instid0(VALU_DEP_2) | instskip(SKIP_1) | instid1(VALU_DEP_3)
	v_cmp_lt_i32_e64 s3, 5, v34
	v_cmp_eq_u32_e64 s5, 3, v34
	v_lshl_or_b32 v33, v33, 9, 0x7c00
	s_delay_alu instid0(VALU_DEP_2) | instskip(NEXT) | instid1(SALU_CYCLE_1)
	s_or_b32 s3, s5, s3
	v_add_co_ci_u32_e64 v26, s3, 0, v26, s3
	v_cmp_gt_i32_e64 s3, 31, v7
	s_delay_alu instid0(VALU_DEP_1) | instskip(SKIP_1) | instid1(VALU_DEP_1)
	v_cndmask_b32_e64 v26, 0x7c00, v26, s3
	v_cmp_eq_u32_e64 s3, 0x40f, v7
	v_cndmask_b32_e64 v7, v26, v33, s3
	v_and_or_b32 v26, 0x8000, v29, v28
	v_add_nc_u32_e32 v28, 0xfffffc10, v30
	v_add_nc_u32_e32 v30, 0xfffffc10, v32
	s_delay_alu instid0(VALU_DEP_4) | instskip(SKIP_1) | instid1(VALU_DEP_4)
	v_and_or_b32 v22, 0x8000, v22, v7
	v_cndmask_b32_e64 v7, 0, 1, s2
	v_lshl_or_b32 v29, v28, 12, v12
	v_cmp_gt_i32_e64 s2, 1, v28
	v_lshl_or_b32 v32, v30, 12, v23
	s_delay_alu instid0(VALU_DEP_4) | instskip(NEXT) | instid1(VALU_DEP_1)
	v_or_b32_e32 v7, v36, v7
	v_cndmask_b32_e64 v7, v29, v7, s2
	v_cndmask_b32_e64 v29, 0, 1, s4
	v_cmp_gt_i32_e64 s2, 1, v30
	v_cmp_ne_u32_e64 s4, 0, v12
	s_delay_alu instid0(VALU_DEP_3) | instskip(NEXT) | instid1(VALU_DEP_1)
	v_or_b32_e32 v29, v37, v29
	v_cndmask_b32_e64 v29, v32, v29, s2
	v_and_b32_e32 v32, 7, v7
	v_lshrrev_b32_e32 v7, 2, v7
	s_delay_alu instid0(VALU_DEP_3) | instskip(NEXT) | instid1(VALU_DEP_3)
	v_and_b32_e32 v12, 7, v29
	v_cmp_lt_i32_e64 s2, 5, v32
	v_cmp_eq_u32_e64 s3, 3, v32
	s_delay_alu instid0(VALU_DEP_3) | instskip(SKIP_1) | instid1(VALU_DEP_3)
	v_cmp_lt_i32_e64 s5, 5, v12
	v_cmp_eq_u32_e64 s6, 3, v12
	s_or_b32 s2, s3, s2
	v_cndmask_b32_e64 v12, 0, 1, s4
	v_add_co_ci_u32_e64 v7, s2, 0, v7, s2
	v_cmp_gt_i32_e64 s2, 31, v28
	s_or_b32 s3, s6, s5
	s_delay_alu instid0(VALU_DEP_3) | instskip(NEXT) | instid1(VALU_DEP_2)
	v_lshl_or_b32 v12, v12, 9, 0x7c00
	v_cndmask_b32_e64 v7, 0x7c00, v7, s2
	v_cmp_eq_u32_e64 s2, 0x40f, v28
	s_delay_alu instid0(VALU_DEP_1) | instskip(SKIP_2) | instid1(VALU_DEP_2)
	v_cndmask_b32_e64 v7, v7, v12, s2
	v_lshrrev_b32_e32 v12, 2, v29
	v_cmp_ne_u32_e64 s2, 0, v23
	v_add_co_ci_u32_e64 v12, s3, 0, v12, s3
	v_cmp_gt_i32_e64 s3, 31, v30
	s_delay_alu instid0(VALU_DEP_3) | instskip(SKIP_1) | instid1(VALU_DEP_3)
	v_cndmask_b32_e64 v23, 0, 1, s2
	v_cmp_eq_u32_e64 s2, 0x40f, v30
	v_cndmask_b32_e64 v12, 0x7c00, v12, s3
	s_delay_alu instid0(VALU_DEP_3) | instskip(NEXT) | instid1(VALU_DEP_1)
	v_lshl_or_b32 v23, v23, 9, 0x7c00
	v_cndmask_b32_e64 v12, v12, v23, s2
	v_lshrrev_b32_e32 v23, 16, v24
	v_and_or_b32 v24, 0x8000, v6, v7
	v_cvt_f32_f16_e32 v6, v11
	s_delay_alu instid0(VALU_DEP_3) | instskip(NEXT) | instid1(VALU_DEP_2)
	v_and_or_b32 v23, 0x8000, v23, v12
	v_cvt_f64_f32_e32 v[6:7], v6
	s_delay_alu instid0(VALU_DEP_1) | instskip(SKIP_2) | instid1(VALU_DEP_2)
	v_mul_f64 v[11:12], v[6:7], s[10:11]
	v_and_b32_e32 v6, 0xffff, v26
	v_and_b32_e32 v7, 0xffff, v24
	v_lshl_or_b32 v22, v22, 16, v6
	v_add_co_u32 v6, s2, v2, s14
	s_delay_alu instid0(VALU_DEP_3) | instskip(SKIP_4) | instid1(VALU_DEP_1)
	v_lshl_or_b32 v23, v23, 16, v7
	v_add_co_ci_u32_e64 v7, s2, s15, v3, s2
	global_store_b32 v[2:3], v22, off
	global_store_b32 v[6:7], v23, off
	v_add_co_u32 v2, s2, v6, s14
	v_add_co_ci_u32_e64 v3, s2, s15, v7, s2
	v_lshrrev_b32_e32 v23, 16, v117
	s_clause 0x1
	scratch_load_b32 v38, off, off offset:24
	scratch_load_b32 v37, off, off offset:20
	v_and_or_b32 v11, 0x1ff, v12, v11
	v_bfe_u32 v24, v12, 20, 11
	v_lshrrev_b32_e32 v7, 8, v12
	v_lshrrev_b32_e32 v12, 16, v12
	s_delay_alu instid0(VALU_DEP_4) | instskip(NEXT) | instid1(VALU_DEP_4)
	v_cmp_ne_u32_e64 s2, 0, v11
	v_sub_nc_u32_e32 v11, 0x3f1, v24
	s_delay_alu instid0(VALU_DEP_2) | instskip(NEXT) | instid1(VALU_DEP_1)
	v_cndmask_b32_e64 v6, 0, 1, s2
	v_and_or_b32 v26, 0xffe, v7, v6
	s_delay_alu instid0(VALU_DEP_3) | instskip(NEXT) | instid1(VALU_DEP_2)
	v_med3_i32 v6, v11, 0, 13
	v_or_b32_e32 v7, 0x1000, v26
	s_delay_alu instid0(VALU_DEP_1) | instskip(NEXT) | instid1(VALU_DEP_1)
	v_lshrrev_b32_e32 v30, v6, v7
	v_lshlrev_b32_e32 v6, v6, v30
	s_delay_alu instid0(VALU_DEP_1) | instskip(SKIP_4) | instid1(VALU_DEP_2)
	v_cmp_ne_u32_e64 s2, v6, v7
	ds_load_2addr_b32 v[6:7], v69 offset0:94 offset1:193
	s_waitcnt lgkmcnt(0)
	v_lshrrev_b32_e32 v11, 16, v6
	v_mul_f16_e32 v22, v23, v6
	v_mul_f16_e32 v23, v23, v11
	s_delay_alu instid0(VALU_DEP_2) | instskip(SKIP_1) | instid1(VALU_DEP_3)
	v_fma_f16 v11, v117, v11, -v22
	v_lshrrev_b32_e32 v22, 16, v116
	v_fmac_f16_e32 v23, v117, v6
	v_lshrrev_b32_e32 v6, 16, v7
	s_delay_alu instid0(VALU_DEP_4) | instskip(NEXT) | instid1(VALU_DEP_2)
	v_cvt_f32_f16_e32 v11, v11
	v_mul_f16_e32 v28, v22, v6
	v_mul_f16_e32 v22, v22, v7
	s_delay_alu instid0(VALU_DEP_2) | instskip(SKIP_1) | instid1(VALU_DEP_3)
	v_fmac_f16_e32 v28, v116, v7
	v_cvt_f32_f16_e32 v7, v8
	v_fma_f16 v34, v116, v6, -v22
	s_delay_alu instid0(VALU_DEP_2) | instskip(NEXT) | instid1(VALU_DEP_1)
	v_cvt_f64_f32_e32 v[6:7], v7
	v_mul_f64 v[6:7], v[6:7], s[10:11]
	s_delay_alu instid0(VALU_DEP_1) | instskip(SKIP_2) | instid1(VALU_DEP_3)
	v_and_or_b32 v6, 0x1ff, v7, v6
	v_lshrrev_b32_e32 v8, 8, v7
	v_lshrrev_b32_e32 v33, 16, v7
	v_cmp_ne_u32_e64 s3, 0, v6
	s_delay_alu instid0(VALU_DEP_1) | instskip(NEXT) | instid1(VALU_DEP_1)
	v_cndmask_b32_e64 v6, 0, 1, s3
	v_and_or_b32 v6, 0xffe, v8, v6
	v_bfe_u32 v8, v7, 20, 11
	s_delay_alu instid0(VALU_DEP_2) | instskip(NEXT) | instid1(VALU_DEP_2)
	v_or_b32_e32 v29, 0x1000, v6
	v_sub_nc_u32_e32 v22, 0x3f1, v8
	v_add_nc_u32_e32 v8, 0xfffffc10, v8
	v_cmp_ne_u32_e64 s4, 0, v6
	s_delay_alu instid0(VALU_DEP_3) | instskip(NEXT) | instid1(VALU_DEP_1)
	v_med3_i32 v22, v22, 0, 13
	v_lshrrev_b32_e32 v32, v22, v29
	s_delay_alu instid0(VALU_DEP_1) | instskip(NEXT) | instid1(VALU_DEP_1)
	v_lshlrev_b32_e32 v22, v22, v32
	v_cmp_ne_u32_e64 s3, v22, v29
	v_lshl_or_b32 v29, v8, 12, v6
	s_delay_alu instid0(VALU_DEP_2) | instskip(SKIP_1) | instid1(VALU_DEP_2)
	v_cndmask_b32_e64 v22, 0, 1, s3
	v_cmp_gt_i32_e64 s3, 1, v8
	v_or_b32_e32 v22, v32, v22
	s_delay_alu instid0(VALU_DEP_1) | instskip(SKIP_2) | instid1(VALU_DEP_2)
	v_cndmask_b32_e64 v22, v29, v22, s3
	v_cndmask_b32_e64 v29, 0, 1, s1
	v_cmp_gt_i32_e64 s1, 1, v9
	v_or_b32_e32 v20, v20, v29
	v_lshl_or_b32 v29, v9, 12, v4
	s_delay_alu instid0(VALU_DEP_1) | instskip(SKIP_1) | instid1(VALU_DEP_2)
	v_cndmask_b32_e64 v20, v29, v20, s1
	v_and_b32_e32 v29, 7, v22
	v_and_b32_e32 v6, 7, v20
	s_delay_alu instid0(VALU_DEP_2) | instskip(SKIP_1) | instid1(VALU_DEP_3)
	v_cmp_lt_i32_e64 s1, 5, v29
	v_cmp_eq_u32_e64 s3, 3, v29
	v_cmp_lt_i32_e64 s5, 5, v6
	v_cmp_eq_u32_e64 s6, 3, v6
	v_lshrrev_b32_e32 v6, 2, v22
	s_delay_alu instid0(VALU_DEP_4) | instskip(SKIP_1) | instid1(VALU_DEP_2)
	s_or_b32 s1, s3, s1
	v_cndmask_b32_e64 v22, 0, 1, s4
	v_add_co_ci_u32_e64 v6, s1, 0, v6, s1
	v_cmp_gt_i32_e64 s1, 31, v8
	s_delay_alu instid0(VALU_DEP_3) | instskip(NEXT) | instid1(VALU_DEP_2)
	v_lshl_or_b32 v22, v22, 9, 0x7c00
	v_cndmask_b32_e64 v6, 0x7c00, v6, s1
	v_cmp_eq_u32_e64 s1, 0x40f, v8
	v_lshrrev_b32_e32 v8, 2, v20
	v_add_nc_u32_e32 v20, 0x1200, v207
	s_delay_alu instid0(VALU_DEP_3) | instskip(SKIP_4) | instid1(VALU_DEP_3)
	v_cndmask_b32_e64 v32, v6, v22, s1
	v_cvt_f32_f16_e32 v6, v23
	s_or_b32 s1, s6, s5
	v_cvt_f64_f32_e32 v[22:23], v11
	v_add_co_ci_u32_e64 v8, s1, 0, v8, s1
	v_cvt_f64_f32_e32 v[6:7], v6
	v_cmp_ne_u32_e64 s1, 0, v4
	s_delay_alu instid0(VALU_DEP_1) | instskip(SKIP_1) | instid1(VALU_DEP_2)
	v_cndmask_b32_e64 v4, 0, 1, s1
	v_cmp_gt_i32_e64 s1, 31, v9
	v_lshl_or_b32 v4, v4, 9, 0x7c00
	s_delay_alu instid0(VALU_DEP_2) | instskip(SKIP_2) | instid1(VALU_DEP_2)
	v_cndmask_b32_e64 v8, 0x7c00, v8, s1
	v_cmp_eq_u32_e64 s1, 0x40f, v9
	v_cvt_f32_f16_e32 v9, v28
	v_cndmask_b32_e64 v4, v8, v4, s1
	s_delay_alu instid0(VALU_DEP_2) | instskip(NEXT) | instid1(VALU_DEP_2)
	v_cvt_f64_f32_e32 v[28:29], v9
	v_and_or_b32 v4, 0x8000, v5, v4
	v_mul_f64 v[8:9], v[6:7], s[10:11]
	v_and_or_b32 v6, 0x8000, v33, v32
	ds_load_2addr_b32 v[32:33], v20 offset0:36 offset1:135
	v_and_b32_e32 v5, 0xffff, v6
	v_mul_f64 v[6:7], v[22:23], s[10:11]
	scratch_load_b32 v23, off, off offset:40 ; 4-byte Folded Reload
	v_lshl_or_b32 v4, v4, 16, v5
	global_store_b32 v[2:3], v4, off
	v_add_co_u32 v4, s1, v2, s14
	s_delay_alu instid0(VALU_DEP_1)
	v_add_co_ci_u32_e64 v5, s1, s15, v3, s1
	v_mul_f64 v[2:3], v[28:29], s[10:11]
	s_clause 0x2
	scratch_load_b32 v29, off, off offset:36
	scratch_load_b32 v28, off, off offset:32
	;; [unrolled: 1-line block ×3, first 2 shown]
	s_waitcnt lgkmcnt(0)
	v_lshrrev_b32_e32 v11, 16, v32
	v_and_or_b32 v8, 0x1ff, v9, v8
	s_delay_alu instid0(VALU_DEP_1) | instskip(SKIP_1) | instid1(VALU_DEP_2)
	v_cmp_ne_u32_e64 s1, 0, v8
	v_and_or_b32 v6, 0x1ff, v7, v6
	v_cndmask_b32_e64 v8, 0, 1, s1
	s_delay_alu instid0(VALU_DEP_2) | instskip(NEXT) | instid1(VALU_DEP_1)
	v_cmp_ne_u32_e64 s1, 0, v6
	v_cndmask_b32_e64 v6, 0, 1, s1
	v_and_or_b32 v2, 0x1ff, v3, v2
	s_delay_alu instid0(VALU_DEP_1) | instskip(NEXT) | instid1(VALU_DEP_1)
	v_cmp_ne_u32_e64 s1, 0, v2
	v_cndmask_b32_e64 v2, 0, 1, s1
	s_waitcnt vmcnt(3)
	v_mul_f16_e32 v22, v23, v32
	v_mul_f16_e32 v23, v23, v11
	s_waitcnt vmcnt(1)
	s_delay_alu instid0(VALU_DEP_2) | instskip(SKIP_1) | instid1(VALU_DEP_3)
	v_fma_f16 v22, v28, v11, -v22
	v_lshrrev_b32_e32 v11, 16, v33
	v_fmac_f16_e32 v23, v28, v32
	v_lshrrev_b32_e32 v32, 8, v9
	s_delay_alu instid0(VALU_DEP_4) | instskip(NEXT) | instid1(VALU_DEP_4)
	v_cvt_f32_f16_e32 v22, v22
	v_mul_f16_e32 v28, v29, v11
	v_mul_f16_e32 v29, v29, v33
	s_delay_alu instid0(VALU_DEP_4)
	v_and_or_b32 v8, 0xffe, v32, v8
	v_add_nc_u32_e32 v32, 0xfffffc10, v10
	v_cvt_f32_f16_e32 v23, v23
	s_waitcnt vmcnt(0)
	v_fmac_f16_e32 v28, v36, v33
	v_fma_f16 v29, v36, v11, -v29
	v_lshrrev_b32_e32 v11, 8, v7
	v_lshrrev_b32_e32 v36, 16, v7
	s_delay_alu instid0(VALU_DEP_2) | instskip(SKIP_1) | instid1(VALU_DEP_1)
	v_and_or_b32 v6, 0xffe, v11, v6
	v_lshrrev_b32_e32 v11, 8, v3
	v_and_or_b32 v2, 0xffe, v11, v2
	v_cndmask_b32_e64 v11, 0, 1, s0
	v_cmp_gt_i32_e64 s0, 1, v32
	s_delay_alu instid0(VALU_DEP_2) | instskip(SKIP_2) | instid1(VALU_DEP_2)
	v_or_b32_e32 v10, v21, v11
	v_lshl_or_b32 v11, v32, 12, v0
	v_cvt_f32_f16_e32 v21, v34
	v_cndmask_b32_e64 v33, v11, v10, s0
	s_delay_alu instid0(VALU_DEP_2) | instskip(NEXT) | instid1(VALU_DEP_1)
	v_cvt_f64_f32_e32 v[10:11], v21
	v_mul_f64 v[10:11], v[10:11], s[10:11]
	s_delay_alu instid0(VALU_DEP_1) | instskip(SKIP_1) | instid1(VALU_DEP_2)
	v_and_or_b32 v10, 0x1ff, v11, v10
	v_lshrrev_b32_e32 v21, 8, v11
	v_cmp_ne_u32_e64 s0, 0, v10
	s_delay_alu instid0(VALU_DEP_1) | instskip(NEXT) | instid1(VALU_DEP_1)
	v_cndmask_b32_e64 v10, 0, 1, s0
	v_and_or_b32 v10, 0xffe, v21, v10
	v_and_b32_e32 v21, 7, v33
	s_delay_alu instid0(VALU_DEP_1) | instskip(SKIP_4) | instid1(VALU_DEP_4)
	v_cmp_lt_i32_e64 s0, 5, v21
	v_cmp_eq_u32_e64 s1, 3, v21
	v_cndmask_b32_e64 v21, 0, 1, s2
	v_cmp_ne_u32_e64 s2, 0, v0
	v_add_nc_u32_e32 v0, 0xfffffc10, v24
	s_or_b32 s0, s1, s0
	s_delay_alu instid0(VALU_DEP_3) | instskip(NEXT) | instid1(VALU_DEP_3)
	v_or_b32_e32 v21, v30, v21
	v_cndmask_b32_e64 v30, 0, 1, s2
	s_delay_alu instid0(VALU_DEP_3) | instskip(SKIP_1) | instid1(VALU_DEP_3)
	v_lshl_or_b32 v24, v0, 12, v26
	v_cmp_gt_i32_e64 s3, 1, v0
	v_lshl_or_b32 v30, v30, 9, 0x7c00
	s_delay_alu instid0(VALU_DEP_2) | instskip(SKIP_2) | instid1(VALU_DEP_2)
	v_cndmask_b32_e64 v21, v24, v21, s3
	v_lshrrev_b32_e32 v24, 2, v33
	v_or_b32_e32 v33, 0x1000, v8
	v_add_co_ci_u32_e64 v24, s0, 0, v24, s0
	v_cmp_gt_i32_e64 s0, 31, v32
	s_delay_alu instid0(VALU_DEP_1) | instskip(SKIP_1) | instid1(VALU_DEP_1)
	v_cndmask_b32_e64 v24, 0x7c00, v24, s0
	v_cmp_eq_u32_e64 s0, 0x40f, v32
	v_cndmask_b32_e64 v24, v24, v30, s0
	v_and_b32_e32 v30, 7, v21
	v_lshrrev_b32_e32 v21, 2, v21
	s_delay_alu instid0(VALU_DEP_3) | instskip(NEXT) | instid1(VALU_DEP_3)
	v_and_or_b32 v24, 0x8000, v1, v24
	v_cmp_lt_i32_e64 s0, 5, v30
	v_cmp_eq_u32_e64 s1, 3, v30
	v_bfe_u32 v30, v9, 20, 11
	v_lshrrev_b32_e32 v9, 16, v9
	v_and_b32_e32 v24, 0xffff, v24
	s_delay_alu instid0(VALU_DEP_4) | instskip(NEXT) | instid1(VALU_DEP_3)
	s_or_b32 s0, s1, s0
	v_sub_nc_u32_e32 v32, 0x3f1, v30
	v_add_co_ci_u32_e64 v21, s0, 0, v21, s0
	v_cmp_ne_u32_e64 s0, 0, v26
	v_add_nc_u32_e32 v30, 0xfffffc10, v30
	s_delay_alu instid0(VALU_DEP_4) | instskip(NEXT) | instid1(VALU_DEP_3)
	v_med3_i32 v32, v32, 0, 13
	v_cndmask_b32_e64 v26, 0, 1, s0
	v_cmp_gt_i32_e64 s0, 31, v0
	s_delay_alu instid0(VALU_DEP_4) | instskip(NEXT) | instid1(VALU_DEP_3)
	v_cmp_gt_i32_e64 s2, 31, v30
	v_lshl_or_b32 v26, v26, 9, 0x7c00
	s_delay_alu instid0(VALU_DEP_3) | instskip(SKIP_1) | instid1(VALU_DEP_1)
	v_cndmask_b32_e64 v21, 0x7c00, v21, s0
	v_cmp_eq_u32_e64 s0, 0x40f, v0
	v_cndmask_b32_e64 v0, v21, v26, s0
	v_lshrrev_b32_e32 v21, v32, v33
	v_bfe_u32 v26, v7, 20, 11
	s_delay_alu instid0(VALU_DEP_3) | instskip(NEXT) | instid1(VALU_DEP_3)
	v_and_or_b32 v12, 0x8000, v12, v0
	v_lshlrev_b32_e32 v32, v32, v21
	s_delay_alu instid0(VALU_DEP_3)
	v_sub_nc_u32_e32 v34, 0x3f1, v26
	v_cvt_f64_f32_e32 v[0:1], v23
	v_add_nc_u32_e32 v26, 0xfffffc10, v26
	v_lshl_or_b32 v12, v12, 16, v24
	v_cmp_ne_u32_e64 s0, v32, v33
	v_med3_i32 v23, v34, 0, 13
	v_or_b32_e32 v33, 0x1000, v6
	v_or_b32_e32 v34, 0x1000, v2
	global_store_b32 v[4:5], v12, off
	v_cndmask_b32_e64 v32, 0, 1, s0
	s_delay_alu instid0(VALU_DEP_1) | instskip(SKIP_1) | instid1(VALU_DEP_1)
	v_or_b32_e32 v21, v21, v32
	v_lshrrev_b32_e32 v32, v23, v33
	v_lshlrev_b32_e32 v23, v23, v32
	s_delay_alu instid0(VALU_DEP_1) | instskip(SKIP_1) | instid1(VALU_DEP_2)
	v_cmp_ne_u32_e64 s0, v23, v33
	v_lshl_or_b32 v23, v30, 12, v8
	v_cndmask_b32_e64 v33, 0, 1, s0
	v_cmp_gt_i32_e64 s0, 1, v30
	s_delay_alu instid0(VALU_DEP_2) | instskip(NEXT) | instid1(VALU_DEP_2)
	v_or_b32_e32 v32, v32, v33
	v_cndmask_b32_e64 v23, v23, v21, s0
	v_cvt_f64_f32_e32 v[21:22], v22
	v_lshl_or_b32 v33, v26, 12, v6
	v_cmp_gt_i32_e64 s0, 1, v26
	v_mul_f64 v[0:1], v[0:1], s[10:11]
	v_and_b32_e32 v24, 7, v23
	v_lshrrev_b32_e32 v12, 2, v23
	v_cvt_f32_f16_e32 v23, v28
	v_cndmask_b32_e64 v32, v33, v32, s0
	v_bfe_u32 v33, v3, 20, 11
	v_cmp_lt_i32_e64 s0, 5, v24
	v_cmp_eq_u32_e64 s1, 3, v24
	v_cvt_f64_f32_e32 v[23:24], v23
	v_and_b32_e32 v28, 7, v32
	v_lshrrev_b32_e32 v32, 2, v32
	v_lshrrev_b32_e32 v3, 16, v3
	s_or_b32 s0, s1, s0
	s_delay_alu instid0(SALU_CYCLE_1) | instskip(SKIP_2) | instid1(VALU_DEP_3)
	v_add_co_ci_u32_e64 v12, s0, 0, v12, s0
	v_cmp_ne_u32_e64 s0, 0, v8
	v_cmp_eq_u32_e64 s1, 3, v28
	v_cndmask_b32_e64 v12, 0x7c00, v12, s2
	v_cmp_eq_u32_e64 s2, 0x40f, v30
	s_delay_alu instid0(VALU_DEP_4)
	v_cndmask_b32_e64 v8, 0, 1, s0
	v_cmp_lt_i32_e64 s0, 5, v28
	v_sub_nc_u32_e32 v28, 0x3f1, v33
	v_bfe_u32 v30, v11, 20, 11
	v_lshrrev_b32_e32 v11, 16, v11
	v_lshl_or_b32 v8, v8, 9, 0x7c00
	s_or_b32 s0, s1, s0
	v_med3_i32 v28, v28, 0, 13
	v_add_co_ci_u32_e64 v32, s0, 0, v32, s0
	v_cmp_ne_u32_e64 s0, 0, v6
	v_cndmask_b32_e64 v8, v12, v8, s2
	v_sub_nc_u32_e32 v12, 0x3f1, v30
	v_mul_f64 v[21:22], v[21:22], s[10:11]
	s_delay_alu instid0(VALU_DEP_4)
	v_cndmask_b32_e64 v6, 0, 1, s0
	v_cmp_gt_i32_e64 s0, 31, v26
	v_and_or_b32 v8, 0x8000, v9, v8
	v_and_or_b32 v0, 0x1ff, v1, v0
	v_lshrrev_b32_e32 v9, v28, v34
	v_lshl_or_b32 v6, v6, 9, 0x7c00
	v_cndmask_b32_e64 v32, 0x7c00, v32, s0
	v_cmp_eq_u32_e64 s0, 0x40f, v26
	v_and_b32_e32 v8, 0xffff, v8
	v_med3_i32 v12, v12, 0, 13
	v_or_b32_e32 v26, 0x1000, v10
	s_delay_alu instid0(VALU_DEP_4) | instskip(SKIP_1) | instid1(VALU_DEP_1)
	v_cndmask_b32_e64 v32, v32, v6, s0
	v_add_co_u32 v6, s0, v4, s14
	v_add_co_ci_u32_e64 v7, s0, s15, v5, s0
	v_mul_f64 v[4:5], v[23:24], s[10:11]
	s_delay_alu instid0(VALU_DEP_4)
	v_and_or_b32 v23, 0x8000, v36, v32
	v_cmp_ne_u32_e64 s0, 0, v0
	v_lshrrev_b32_e32 v24, v12, v26
	v_lshrrev_b32_e32 v32, 8, v1
	v_bfe_u32 v36, v1, 20, 11
	v_lshl_or_b32 v8, v23, 16, v8
	v_lshlrev_b32_e32 v23, v28, v9
	v_cndmask_b32_e64 v0, 0, 1, s0
	v_lshlrev_b32_e32 v12, v12, v24
	v_sub_nc_u32_e32 v28, 0x3f1, v36
	global_store_b32 v[6:7], v8, off
	v_cmp_ne_u32_e64 s0, v23, v34
	v_add_nc_u32_e32 v23, 0xfffffc10, v33
	v_and_or_b32 v0, 0xffe, v32, v0
	v_med3_i32 v28, v28, 0, 13
	v_lshrrev_b32_e32 v1, 16, v1
	v_cndmask_b32_e64 v8, 0, 1, s0
	v_add_co_u32 v6, s0, v6, s14
	s_delay_alu instid0(VALU_DEP_1) | instskip(NEXT) | instid1(VALU_DEP_3)
	v_add_co_ci_u32_e64 v7, s0, s15, v7, s0
	v_or_b32_e32 v8, v9, v8
	v_lshl_or_b32 v9, v23, 12, v2
	v_and_or_b32 v21, 0x1ff, v22, v21
	v_cmp_gt_i32_e64 s0, 1, v23
	v_or_b32_e32 v32, 0x1000, v0
	v_bfe_u32 v33, v22, 20, 11
	s_delay_alu instid0(VALU_DEP_3) | instskip(SKIP_3) | instid1(VALU_DEP_3)
	v_cndmask_b32_e64 v8, v9, v8, s0
	v_cmp_ne_u32_e64 s0, 0, v21
	v_lshrrev_b32_e32 v21, 8, v22
	v_lshrrev_b32_e32 v22, 16, v22
	v_cndmask_b32_e64 v9, 0, 1, s0
	v_cmp_ne_u32_e64 s0, v12, v26
	v_and_b32_e32 v12, 7, v8
	v_and_or_b32 v4, 0x1ff, v5, v4
	v_lshrrev_b32_e32 v8, 2, v8
	v_and_or_b32 v21, 0xffe, v21, v9
	v_cndmask_b32_e64 v9, 0, 1, s0
	v_cmp_lt_i32_e64 s1, 5, v12
	v_cmp_eq_u32_e64 s2, 3, v12
	v_cmp_ne_u32_e64 s0, 0, v4
	v_add_nc_u32_e32 v12, 0xfffffc10, v30
	v_or_b32_e32 v9, v24, v9
	v_lshrrev_b32_e32 v26, v28, v32
	s_delay_alu instid0(VALU_DEP_4)
	v_cndmask_b32_e64 v4, 0, 1, s0
	s_or_b32 s0, s2, s1
	v_lshl_or_b32 v24, v12, 12, v10
	v_add_co_ci_u32_e64 v8, s0, 0, v8, s0
	v_cmp_ne_u32_e64 s0, 0, v2
	v_lshlrev_b32_e32 v28, v28, v26
	s_delay_alu instid0(VALU_DEP_2) | instskip(SKIP_1) | instid1(VALU_DEP_2)
	v_cndmask_b32_e64 v2, 0, 1, s0
	v_cmp_gt_i32_e64 s0, 1, v12
	v_lshl_or_b32 v2, v2, 9, 0x7c00
	s_delay_alu instid0(VALU_DEP_2) | instskip(SKIP_3) | instid1(VALU_DEP_3)
	v_cndmask_b32_e64 v30, v24, v9, s0
	v_cmp_gt_i32_e64 s0, 31, v23
	v_lshrrev_b32_e32 v9, 8, v5
	v_cvt_f32_f16_e32 v24, v29
	v_cndmask_b32_e64 v8, 0x7c00, v8, s0
	v_cmp_eq_u32_e64 s0, 0x40f, v23
	s_delay_alu instid0(VALU_DEP_4) | instskip(SKIP_2) | instid1(VALU_DEP_4)
	v_and_or_b32 v29, 0xffe, v9, v4
	v_and_b32_e32 v4, 7, v30
	v_lshrrev_b32_e32 v30, 2, v30
	v_cndmask_b32_e64 v2, v8, v2, s0
	v_cvt_f64_f32_e32 v[8:9], v24
	s_delay_alu instid0(VALU_DEP_4)
	v_cmp_lt_i32_e64 s0, 5, v4
	v_cmp_eq_u32_e64 s1, 3, v4
	v_sub_nc_u32_e32 v4, 0x3f1, v33
	v_and_or_b32 v34, 0x8000, v3, v2
	v_or_b32_e32 v2, 0x1000, v21
	ds_load_2addr_b32 v[23:24], v35 offset0:106 offset1:205
	s_or_b32 s0, s1, s0
	v_cmp_ne_u32_e64 s1, v28, v32
	v_add_co_ci_u32_e64 v30, s0, 0, v30, s0
	v_cmp_ne_u32_e64 s0, 0, v10
	v_med3_i32 v4, v4, 0, 13
	v_add_nc_u32_e32 v32, 0xfffffc10, v36
	v_add_nc_u32_e32 v33, 0xfffffc10, v33
	v_and_b32_e32 v34, 0xffff, v34
	v_cndmask_b32_e64 v10, 0, 1, s0
	v_cmp_gt_i32_e64 s0, 31, v12
	v_bfe_u32 v35, v5, 20, 11
	v_cmp_gt_i32_e64 s2, 1, v33
	v_lshrrev_b32_e32 v5, 16, v5
	v_lshl_or_b32 v10, v10, 9, 0x7c00
	v_cndmask_b32_e64 v3, 0x7c00, v30, s0
	v_cmp_eq_u32_e64 s0, 0x40f, v12
	v_cndmask_b32_e64 v30, 0, 1, s1
	v_lshrrev_b32_e32 v12, v4, v2
	s_waitcnt lgkmcnt(0)
	v_lshrrev_b32_e32 v28, 16, v23
	v_cndmask_b32_e64 v3, v3, v10, s0
	v_or_b32_e32 v26, v26, v30
	v_lshl_or_b32 v30, v32, 12, v0
	v_cmp_gt_i32_e64 s0, 1, v32
	v_lshlrev_b32_e32 v4, v4, v12
	v_and_or_b32 v11, 0x8000, v11, v3
	v_mul_f16_e32 v10, v38, v28
	s_delay_alu instid0(VALU_DEP_4) | instskip(NEXT) | instid1(VALU_DEP_4)
	v_cndmask_b32_e64 v26, v30, v26, s0
	v_cmp_ne_u32_e64 s0, v4, v2
	v_mul_f64 v[8:9], v[8:9], s[10:11]
	v_lshl_or_b32 v34, v11, 16, v34
	v_fmac_f16_e32 v10, v37, v23
	v_and_b32_e32 v36, 7, v26
	v_cndmask_b32_e64 v4, 0, 1, s0
	v_lshrrev_b32_e32 v26, 2, v26
	v_sub_nc_u32_e32 v30, 0x3f1, v35
	v_cvt_f32_f16_e32 v10, v10
	v_cmp_lt_i32_e64 s0, 5, v36
	v_cmp_eq_u32_e64 s1, 3, v36
	v_or_b32_e32 v4, v12, v4
	v_lshl_or_b32 v12, v33, 12, v21
	v_cvt_f64_f32_e32 v[2:3], v10
	v_med3_i32 v10, v30, 0, 13
	s_or_b32 s0, s1, s0
	v_or_b32_e32 v30, 0x1000, v29
	v_cndmask_b32_e64 v4, v12, v4, s2
	v_add_co_ci_u32_e64 v12, s0, 0, v26, s0
	v_cmp_ne_u32_e64 s0, 0, v0
	s_delay_alu instid0(VALU_DEP_4)
	v_lshrrev_b32_e32 v26, v10, v30
	global_store_b32 v[6:7], v34, off
	v_cndmask_b32_e64 v0, 0, 1, s0
	v_cmp_gt_i32_e64 s0, 31, v32
	v_lshlrev_b32_e32 v36, v10, v26
	v_mul_f16_e32 v10, v38, v23
	s_delay_alu instid0(VALU_DEP_4) | instskip(NEXT) | instid1(VALU_DEP_4)
	v_lshl_or_b32 v0, v0, 9, 0x7c00
	v_cndmask_b32_e64 v11, 0x7c00, v12, s0
	v_and_b32_e32 v12, 7, v4
	v_cmp_eq_u32_e64 s0, 0x40f, v32
	v_lshrrev_b32_e32 v4, 2, v4
	v_fma_f16 v10, v37, v28, -v10
	scratch_load_b32 v37, off, off offset:8 ; 4-byte Folded Reload
	v_cmp_eq_u32_e64 s1, 3, v12
	v_cndmask_b32_e64 v0, v11, v0, s0
	v_cmp_lt_i32_e64 s0, 5, v12
	v_and_or_b32 v8, 0x1ff, v9, v8
	v_lshrrev_b32_e32 v12, 8, v9
	v_cvt_f32_f16_e32 v10, v10
	v_and_or_b32 v0, 0x8000, v1, v0
	s_or_b32 s0, s1, s0
	s_delay_alu instid0(SALU_CYCLE_1)
	v_add_co_ci_u32_e64 v4, s0, 0, v4, s0
	v_cmp_ne_u32_e64 s0, 0, v21
	v_bfe_u32 v21, v9, 20, 11
	v_and_b32_e32 v0, 0xffff, v0
	v_mul_f64 v[2:3], v[2:3], s[10:11]
	v_lshrrev_b32_e32 v9, 16, v9
	v_cndmask_b32_e64 v11, 0, 1, s0
	v_cmp_ne_u32_e64 s0, 0, v8
	s_delay_alu instid0(VALU_DEP_2) | instskip(NEXT) | instid1(VALU_DEP_2)
	v_lshl_or_b32 v23, v11, 9, 0x7c00
	v_cndmask_b32_e64 v8, 0, 1, s0
	v_cmp_gt_i32_e64 s0, 31, v33
	v_cvt_f64_f32_e32 v[10:11], v10
	s_delay_alu instid0(VALU_DEP_3) | instskip(NEXT) | instid1(VALU_DEP_3)
	v_and_or_b32 v8, 0xffe, v12, v8
	v_cndmask_b32_e64 v4, 0x7c00, v4, s0
	v_cmp_eq_u32_e64 s0, 0x40f, v33
	scratch_load_b32 v33, off, off offset:12 ; 4-byte Folded Reload
	v_sub_nc_u32_e32 v12, 0x3f1, v21
	v_add_nc_u32_e32 v21, 0xfffffc10, v21
	v_cndmask_b32_e64 v4, v4, v23, s0
	v_cmp_ne_u32_e64 s0, v36, v30
	v_add_nc_u32_e32 v30, 0xfffffc10, v35
	s_clause 0x1
	scratch_load_b32 v35, off, off offset:16
	scratch_load_b32 v36, off, off offset:4
	v_or_b32_e32 v23, 0x1000, v8
	v_med3_i32 v12, v12, 0, 13
	v_cndmask_b32_e64 v28, 0, 1, s0
	v_and_or_b32 v4, 0x8000, v22, v4
	v_lshrrev_b32_e32 v22, 16, v24
	v_cmp_gt_i32_e64 s0, 1, v30
	v_lshrrev_b32_e32 v32, v12, v23
	v_or_b32_e32 v1, v26, v28
	v_lshl_or_b32 v26, v30, 12, v29
	v_lshl_or_b32 v4, v4, 16, v0
	v_cmp_eq_u32_e64 s2, 0x40f, v30
	v_lshlrev_b32_e32 v12, v12, v32
	s_delay_alu instid0(VALU_DEP_4) | instskip(SKIP_1) | instid1(VALU_DEP_3)
	v_cndmask_b32_e64 v26, v26, v1, s0
	v_and_or_b32 v2, 0x1ff, v3, v2
	v_cmp_ne_u32_e64 s0, v12, v23
	s_delay_alu instid0(VALU_DEP_3) | instskip(NEXT) | instid1(VALU_DEP_2)
	v_and_b32_e32 v23, 7, v26
	v_cndmask_b32_e64 v12, 0, 1, s0
	v_add_co_u32 v0, s0, v6, s14
	s_delay_alu instid0(VALU_DEP_1) | instskip(SKIP_1) | instid1(VALU_DEP_4)
	v_add_co_ci_u32_e64 v1, s0, s15, v7, s0
	v_cmp_ne_u32_e64 s0, 0, v2
	v_or_b32_e32 v12, v32, v12
	v_mul_f64 v[10:11], v[10:11], s[10:11]
	v_cmp_eq_u32_e64 s1, 3, v23
	v_lshrrev_b32_e32 v32, 8, v3
	v_cndmask_b32_e64 v2, 0, 1, s0
	v_cmp_gt_i32_e64 s0, 1, v21
	s_delay_alu instid0(VALU_DEP_2) | instskip(SKIP_3) | instid1(VALU_DEP_1)
	v_and_or_b32 v2, 0xffe, v32, v2
	v_and_or_b32 v10, 0x1ff, v11, v10
	s_waitcnt vmcnt(1)
	v_mul_f16_e32 v28, v35, v22
	v_fmac_f16_e32 v28, v33, v24
	v_mul_f16_e32 v24, v35, v24
	s_delay_alu instid0(VALU_DEP_2) | instskip(SKIP_1) | instid1(VALU_DEP_3)
	v_cvt_f32_f16_e32 v6, v28
	v_lshl_or_b32 v28, v21, 12, v8
	v_fma_f16 v22, v33, v22, -v24
	s_delay_alu instid0(VALU_DEP_3) | instskip(NEXT) | instid1(VALU_DEP_3)
	v_cvt_f64_f32_e32 v[6:7], v6
	v_cndmask_b32_e64 v12, v28, v12, s0
	v_cmp_lt_i32_e64 s0, 5, v23
	v_lshrrev_b32_e32 v23, 2, v26
	v_bfe_u32 v28, v3, 20, 11
	v_cvt_f32_f16_e32 v22, v22
	v_and_b32_e32 v26, 7, v12
	s_or_b32 s0, s1, s0
	v_cmp_gt_i32_e64 s1, 31, v30
	v_add_co_ci_u32_e64 v23, s0, 0, v23, s0
	v_cmp_ne_u32_e64 s0, 0, v29
	v_sub_nc_u32_e32 v32, 0x3f1, v28
	v_lshrrev_b32_e32 v12, 2, v12
	s_delay_alu instid0(VALU_DEP_4)
	v_cndmask_b32_e64 v23, 0x7c00, v23, s1
	v_cmp_eq_u32_e64 s1, 3, v26
	v_cndmask_b32_e64 v29, 0, 1, s0
	v_cmp_lt_i32_e64 s0, 5, v26
	v_or_b32_e32 v26, 0x1000, v2
	v_med3_i32 v32, v32, 0, 13
	v_lshrrev_b32_e32 v3, 16, v3
	v_lshl_or_b32 v29, v29, 9, 0x7c00
	s_or_b32 s0, s1, s0
	s_delay_alu instid0(SALU_CYCLE_1) | instskip(NEXT) | instid1(VALU_DEP_2)
	v_add_co_ci_u32_e64 v12, s0, 0, v12, s0
	v_cndmask_b32_e64 v23, v23, v29, s2
	v_lshrrev_b32_e32 v29, v32, v26
	v_cmp_ne_u32_e64 s0, 0, v8
	s_delay_alu instid0(VALU_DEP_3) | instskip(NEXT) | instid1(VALU_DEP_3)
	v_and_or_b32 v5, 0x8000, v5, v23
	v_lshlrev_b32_e32 v30, v32, v29
	s_delay_alu instid0(VALU_DEP_3)
	v_cndmask_b32_e64 v8, 0, 1, s0
	v_cmp_gt_i32_e64 s0, 31, v21
	ds_load_b32 v32, v207 offset:6336
	v_mul_f64 v[6:7], v[6:7], s[10:11]
	v_cndmask_b32_e64 v12, 0x7c00, v12, s0
	v_cmp_ne_u32_e64 s0, v30, v26
	v_lshl_or_b32 v8, v8, 9, 0x7c00
	v_lshrrev_b32_e32 v26, 8, v11
	s_delay_alu instid0(VALU_DEP_3) | instskip(SKIP_2) | instid1(VALU_DEP_3)
	v_cndmask_b32_e64 v24, 0, 1, s0
	v_cmp_eq_u32_e64 s0, 0x40f, v21
	v_cvt_f64_f32_e32 v[21:22], v22
	v_or_b32_e32 v24, v29, v24
	s_delay_alu instid0(VALU_DEP_3)
	v_cndmask_b32_e64 v8, v12, v8, s0
	v_cmp_ne_u32_e64 s0, 0, v10
	v_add_nc_u32_e32 v12, 0xfffffc10, v28
	v_bfe_u32 v28, v11, 20, 11
	s_waitcnt lgkmcnt(0)
	v_lshrrev_b32_e32 v29, 16, v32
	v_and_or_b32 v34, 0x8000, v9, v8
	v_cndmask_b32_e64 v10, 0, 1, s0
	v_lshl_or_b32 v30, v12, 12, v2
	v_cmp_gt_i32_e64 s0, 1, v12
	v_mul_f16_e32 v33, v37, v29
	v_lshrrev_b32_e32 v11, 16, v11
	v_and_or_b32 v10, 0xffe, v26, v10
	v_sub_nc_u32_e32 v26, 0x3f1, v28
	v_cndmask_b32_e64 v24, v30, v24, s0
	s_waitcnt vmcnt(0)
	v_fmac_f16_e32 v33, v36, v32
	v_add_nc_u32_e32 v28, 0xfffffc10, v28
	v_or_b32_e32 v30, 0x1000, v10
	v_med3_i32 v26, v26, 0, 13
	v_and_b32_e32 v23, 7, v24
	v_cvt_f32_f16_e32 v8, v33
	v_and_b32_e32 v33, 0xffff, v5
	v_mul_f16_e32 v5, v37, v32
	v_lshrrev_b32_e32 v35, v26, v30
	v_cmp_lt_i32_e64 s0, 5, v23
	v_cvt_f64_f32_e32 v[8:9], v8
	v_and_or_b32 v6, 0x1ff, v7, v6
	v_fma_f16 v5, v36, v29, -v5
	v_lshlrev_b32_e32 v26, v26, v35
	v_cmp_eq_u32_e64 s1, 3, v23
	v_lshrrev_b32_e32 v24, 2, v24
	v_lshrrev_b32_e32 v29, 8, v7
	v_bfe_u32 v32, v7, 20, 11
	v_cmp_ne_u32_e64 s2, v26, v30
	v_cvt_f32_f16_e32 v30, v5
	s_or_b32 s0, s1, s0
	v_lshl_or_b32 v33, v34, 16, v33
	v_add_co_ci_u32_e64 v24, s0, 0, v24, s0
	v_cndmask_b32_e64 v23, 0, 1, s2
	v_cmp_ne_u32_e64 s2, 0, v6
	v_mul_f64 v[5:6], v[21:22], s[10:11]
	v_cvt_f64_f32_e32 v[21:22], v30
	v_cmp_ne_u32_e64 s0, 0, v2
	v_or_b32_e32 v23, v35, v23
	v_cndmask_b32_e64 v26, 0, 1, s2
	v_lshl_or_b32 v30, v28, 12, v10
	v_lshrrev_b32_e32 v7, 16, v7
	v_cndmask_b32_e64 v2, 0, 1, s0
	v_cmp_gt_i32_e64 s0, 1, v28
	v_and_or_b32 v26, 0xffe, v29, v26
	v_sub_nc_u32_e32 v29, 0x3f1, v32
	s_delay_alu instid0(VALU_DEP_4) | instskip(NEXT) | instid1(VALU_DEP_4)
	v_lshl_or_b32 v2, v2, 9, 0x7c00
	v_cndmask_b32_e64 v23, v30, v23, s0
	s_delay_alu instid0(VALU_DEP_4) | instskip(NEXT) | instid1(VALU_DEP_4)
	v_or_b32_e32 v35, 0x1000, v26
	v_med3_i32 v29, v29, 0, 13
	v_cmp_gt_i32_e64 s0, 31, v12
	s_delay_alu instid0(VALU_DEP_4) | instskip(NEXT) | instid1(VALU_DEP_3)
	v_and_b32_e32 v36, 7, v23
	v_lshrrev_b32_e32 v30, v29, v35
	s_delay_alu instid0(VALU_DEP_3) | instskip(SKIP_1) | instid1(VALU_DEP_4)
	v_cndmask_b32_e64 v24, 0x7c00, v24, s0
	v_cmp_eq_u32_e64 s0, 0x40f, v12
	v_cmp_eq_u32_e64 s1, 3, v36
	v_lshrrev_b32_e32 v12, 2, v23
	v_lshlrev_b32_e32 v29, v29, v30
	v_mul_f64 v[8:9], v[8:9], s[10:11]
	v_cndmask_b32_e64 v2, v24, v2, s0
	v_cmp_lt_i32_e64 s0, 5, v36
	v_add_nc_u32_e32 v24, 0xfffffc10, v32
	v_cmp_ne_u32_e64 s2, v29, v35
	s_delay_alu instid0(VALU_DEP_4) | instskip(NEXT) | instid1(VALU_DEP_4)
	v_and_or_b32 v2, 0x8000, v3, v2
	s_or_b32 s0, s1, s0
	s_delay_alu instid0(VALU_DEP_3)
	v_lshl_or_b32 v29, v24, 12, v26
	v_add_co_ci_u32_e64 v12, s0, 0, v12, s0
	v_cndmask_b32_e64 v23, 0, 1, s2
	v_cmp_ne_u32_e64 s0, 0, v10
	v_and_or_b32 v5, 0x1ff, v6, v5
	v_mul_f64 v[21:22], v[21:22], s[10:11]
	v_and_b32_e32 v2, 0xffff, v2
	v_or_b32_e32 v23, v30, v23
	v_cndmask_b32_e64 v10, 0, 1, s0
	v_cmp_gt_i32_e64 s0, 1, v24
	v_bfe_u32 v30, v6, 20, 11
	s_delay_alu instid0(VALU_DEP_3) | instskip(NEXT) | instid1(VALU_DEP_3)
	v_lshl_or_b32 v10, v10, 9, 0x7c00
	v_cndmask_b32_e64 v23, v29, v23, s0
	v_cmp_ne_u32_e64 s0, 0, v5
	v_lshrrev_b32_e32 v29, 8, v6
	v_lshrrev_b32_e32 v6, 16, v6
	s_delay_alu instid0(VALU_DEP_4) | instskip(NEXT) | instid1(VALU_DEP_4)
	v_and_b32_e32 v32, 7, v23
	v_cndmask_b32_e64 v5, 0, 1, s0
	v_cmp_gt_i32_e64 s0, 31, v28
	v_lshrrev_b32_e32 v23, 2, v23
	s_delay_alu instid0(VALU_DEP_4) | instskip(NEXT) | instid1(VALU_DEP_4)
	v_cmp_eq_u32_e64 s1, 3, v32
	v_and_or_b32 v5, 0xffe, v29, v5
	s_delay_alu instid0(VALU_DEP_4) | instskip(SKIP_3) | instid1(VALU_DEP_3)
	v_cndmask_b32_e64 v12, 0x7c00, v12, s0
	v_cmp_eq_u32_e64 s0, 0x40f, v28
	v_sub_nc_u32_e32 v29, 0x3f1, v30
	v_and_or_b32 v8, 0x1ff, v9, v8
	v_cndmask_b32_e64 v3, v12, v10, s0
	v_cmp_lt_i32_e64 s0, 5, v32
	v_or_b32_e32 v10, 0x1000, v5
	v_med3_i32 v12, v29, 0, 13
	v_bfe_u32 v29, v9, 20, 11
	v_and_or_b32 v3, 0x8000, v11, v3
	s_or_b32 s0, s1, s0
	s_delay_alu instid0(SALU_CYCLE_1) | instskip(SKIP_4) | instid1(VALU_DEP_4)
	v_add_co_ci_u32_e64 v23, s0, 0, v23, s0
	v_cmp_ne_u32_e64 s0, 0, v26
	v_lshrrev_b32_e32 v28, v12, v10
	v_and_or_b32 v21, 0x1ff, v22, v21
	v_bfe_u32 v32, v22, 20, 11
	v_cndmask_b32_e64 v26, 0, 1, s0
	v_cmp_gt_i32_e64 s0, 31, v24
	v_lshlrev_b32_e32 v12, v12, v28
	s_delay_alu instid0(VALU_DEP_2) | instskip(SKIP_4) | instid1(VALU_DEP_4)
	v_cndmask_b32_e64 v11, 0x7c00, v23, s0
	v_cmp_ne_u32_e64 s0, 0, v8
	v_lshl_or_b32 v23, v26, 9, 0x7c00
	v_lshrrev_b32_e32 v26, 8, v9
	v_lshrrev_b32_e32 v9, 16, v9
	v_cndmask_b32_e64 v8, 0, 1, s0
	v_cmp_ne_u32_e64 s0, v12, v10
	v_add_nc_u32_e32 v12, 0xfffffc10, v30
	v_lshrrev_b32_e32 v30, 8, v22
	s_delay_alu instid0(VALU_DEP_4) | instskip(NEXT) | instid1(VALU_DEP_4)
	v_and_or_b32 v8, 0xffe, v26, v8
	v_cndmask_b32_e64 v10, 0, 1, s0
	v_cmp_ne_u32_e64 s0, 0, v21
	v_sub_nc_u32_e32 v26, 0x3f1, v29
	v_lshl_or_b32 v34, v12, 12, v5
	v_add_nc_u32_e32 v29, 0xfffffc10, v29
	v_or_b32_e32 v10, v28, v10
	v_cndmask_b32_e64 v21, 0, 1, s0
	v_med3_i32 v26, v26, 0, 13
	v_cmp_gt_i32_e64 s0, 1, v12
	v_sub_nc_u32_e32 v28, 0x3f1, v32
	s_delay_alu instid0(VALU_DEP_4) | instskip(SKIP_1) | instid1(VALU_DEP_4)
	v_and_or_b32 v21, 0xffe, v30, v21
	v_or_b32_e32 v30, 0x1000, v8
	v_cndmask_b32_e64 v34, v34, v10, s0
	v_cmp_eq_u32_e64 s0, 0x40f, v24
	v_med3_i32 v28, v28, 0, 13
	v_or_b32_e32 v35, 0x1000, v21
	v_lshrrev_b32_e32 v36, v26, v30
	v_and_b32_e32 v10, 7, v34
	v_cndmask_b32_e64 v23, v11, v23, s0
	v_lshrrev_b32_e32 v34, 2, v34
	v_lshrrev_b32_e32 v24, v28, v35
	v_lshlrev_b32_e32 v11, v26, v36
	v_cmp_lt_i32_e64 s0, 5, v10
	v_cmp_eq_u32_e64 s1, 3, v10
	v_and_or_b32 v7, 0x8000, v7, v23
	v_lshlrev_b32_e32 v26, v28, v24
	v_cmp_ne_u32_e64 s2, v11, v30
	v_lshl_or_b32 v30, v29, 12, v8
	s_or_b32 s0, s1, s0
	s_delay_alu instid0(VALU_DEP_2) | instskip(SKIP_1) | instid1(VALU_DEP_1)
	v_cndmask_b32_e64 v28, 0, 1, s2
	v_add_co_u32 v10, s2, v0, s14
	v_add_co_ci_u32_e64 v11, s2, s15, v1, s2
	s_delay_alu instid0(VALU_DEP_3) | instskip(SKIP_1) | instid1(VALU_DEP_1)
	v_or_b32_e32 v28, v36, v28
	v_cmp_gt_i32_e64 s2, 1, v29
	v_cndmask_b32_e64 v28, v30, v28, s2
	v_cmp_ne_u32_e64 s2, v26, v35
	v_add_nc_u32_e32 v30, 0xfffffc10, v32
	v_add_co_ci_u32_e64 v32, s0, 0, v34, s0
	s_delay_alu instid0(VALU_DEP_4) | instskip(NEXT) | instid1(VALU_DEP_4)
	v_and_b32_e32 v34, 7, v28
	v_cndmask_b32_e64 v26, 0, 1, s2
	v_cmp_ne_u32_e64 s0, 0, v5
	v_cmp_gt_i32_e64 s1, 1, v30
	v_cmp_gt_i32_e64 s2, 31, v12
	s_delay_alu instid0(VALU_DEP_4) | instskip(SKIP_3) | instid1(VALU_DEP_3)
	v_or_b32_e32 v24, v24, v26
	v_lshl_or_b32 v26, v30, 12, v21
	v_cndmask_b32_e64 v5, 0, 1, s0
	v_cmp_lt_i32_e64 s0, 5, v34
	v_cndmask_b32_e64 v23, v26, v24, s1
	v_cmp_eq_u32_e64 s1, 3, v34
	v_lshrrev_b32_e32 v26, 2, v28
	v_cndmask_b32_e64 v24, 0x7c00, v32, s2
	v_cmp_eq_u32_e64 s2, 0x40f, v12
	v_and_b32_e32 v28, 7, v23
	s_or_b32 s0, s1, s0
	v_lshrrev_b32_e32 v12, 2, v23
	v_add_co_ci_u32_e64 v26, s0, 0, v26, s0
	v_cmp_ne_u32_e64 s0, 0, v8
	v_cmp_eq_u32_e64 s1, 3, v28
	v_lshl_or_b32 v5, v5, 9, 0x7c00
	s_delay_alu instid0(VALU_DEP_3) | instskip(SKIP_1) | instid1(VALU_DEP_3)
	v_cndmask_b32_e64 v8, 0, 1, s0
	v_cmp_lt_i32_e64 s0, 5, v28
	v_cndmask_b32_e64 v5, v24, v5, s2
	v_cmp_gt_i32_e64 s2, 31, v29
	s_delay_alu instid0(VALU_DEP_4) | instskip(NEXT) | instid1(VALU_DEP_4)
	v_lshl_or_b32 v8, v8, 9, 0x7c00
	s_or_b32 s0, s1, s0
	s_delay_alu instid0(SALU_CYCLE_1) | instskip(SKIP_2) | instid1(VALU_DEP_2)
	v_add_co_ci_u32_e64 v12, s0, 0, v12, s0
	v_cmp_ne_u32_e64 s0, 0, v21
	v_cndmask_b32_e64 v23, 0x7c00, v26, s2
	v_cndmask_b32_e64 v21, 0, 1, s0
	v_cmp_eq_u32_e64 s0, 0x40f, v29
	s_delay_alu instid0(VALU_DEP_2) | instskip(NEXT) | instid1(VALU_DEP_2)
	v_lshl_or_b32 v21, v21, 9, 0x7c00
	v_cndmask_b32_e64 v8, v23, v8, s0
	v_cmp_gt_i32_e64 s0, 31, v30
	v_lshl_or_b32 v23, v3, 16, v2
	v_and_or_b32 v2, 0x8000, v6, v5
	v_and_b32_e32 v3, 0xffff, v7
	v_and_or_b32 v7, 0x8000, v9, v8
	v_cndmask_b32_e64 v12, 0x7c00, v12, s0
	v_cmp_eq_u32_e64 s0, 0x40f, v30
	v_lshrrev_b32_e32 v9, 16, v22
	s_delay_alu instid0(VALU_DEP_2) | instskip(SKIP_1) | instid1(VALU_DEP_1)
	v_cndmask_b32_e64 v8, v12, v21, s0
	v_add_co_u32 v5, s0, v10, s14
	v_add_co_ci_u32_e64 v6, s0, s15, v11, s0
	v_lshl_or_b32 v12, v2, 16, v3
	s_delay_alu instid0(VALU_DEP_4) | instskip(SKIP_2) | instid1(VALU_DEP_1)
	v_and_or_b32 v2, 0x8000, v9, v8
	v_and_b32_e32 v3, 0xffff, v7
	v_add_co_u32 v7, s0, v5, s14
	v_add_co_ci_u32_e64 v8, s0, s15, v6, s0
	s_delay_alu instid0(VALU_DEP_3) | instskip(NEXT) | instid1(VALU_DEP_3)
	v_lshl_or_b32 v9, v2, 16, v3
	v_add_co_u32 v2, s0, v7, s14
	s_delay_alu instid0(VALU_DEP_1)
	v_add_co_ci_u32_e64 v3, s0, s15, v8, s0
	global_store_b32 v[0:1], v4, off
	global_store_b32 v[10:11], v33, off
	;; [unrolled: 1-line block ×5, first 2 shown]
	s_and_b32 exec_lo, exec_lo, vcc_lo
	s_cbranch_execz .LBB0_15
; %bb.14:
	global_load_b32 v4, v[18:19], off offset:204
	ds_load_2addr_b32 v[0:1], v207 offset0:51 offset1:150
	s_waitcnt lgkmcnt(0)
	v_lshrrev_b32_e32 v5, 16, v0
	s_waitcnt vmcnt(0)
	v_lshrrev_b32_e32 v6, 16, v4
	s_delay_alu instid0(VALU_DEP_1) | instskip(SKIP_1) | instid1(VALU_DEP_2)
	v_mul_f16_e32 v7, v5, v6
	v_mul_f16_e32 v6, v0, v6
	v_fmac_f16_e32 v7, v0, v4
	s_delay_alu instid0(VALU_DEP_2) | instskip(NEXT) | instid1(VALU_DEP_2)
	v_fma_f16 v0, v4, v5, -v6
	v_cvt_f32_f16_e32 v4, v7
	s_delay_alu instid0(VALU_DEP_2) | instskip(NEXT) | instid1(VALU_DEP_2)
	v_cvt_f32_f16_e32 v0, v0
	v_cvt_f64_f32_e32 v[4:5], v4
	s_delay_alu instid0(VALU_DEP_2) | instskip(NEXT) | instid1(VALU_DEP_2)
	v_cvt_f64_f32_e32 v[6:7], v0
	v_mul_f64 v[4:5], v[4:5], s[10:11]
	s_delay_alu instid0(VALU_DEP_2) | instskip(NEXT) | instid1(VALU_DEP_2)
	v_mul_f64 v[6:7], v[6:7], s[10:11]
	v_and_or_b32 v0, 0x1ff, v5, v4
	s_delay_alu instid0(VALU_DEP_2)
	v_and_or_b32 v6, 0x1ff, v7, v6
	v_lshrrev_b32_e32 v4, 8, v5
	v_bfe_u32 v8, v5, 20, 11
	v_lshrrev_b32_e32 v9, 8, v7
	v_cmp_ne_u32_e32 vcc_lo, 0, v0
	v_bfe_u32 v10, v7, 20, 11
	v_lshrrev_b32_e32 v5, 16, v5
	v_sub_nc_u32_e32 v11, 0x3f1, v8
	v_add_nc_u32_e32 v8, 0xfffffc10, v8
	v_cndmask_b32_e64 v0, 0, 1, vcc_lo
	v_cmp_ne_u32_e32 vcc_lo, 0, v6
	v_lshrrev_b32_e32 v7, 16, v7
	s_delay_alu instid0(VALU_DEP_3) | instskip(SKIP_3) | instid1(VALU_DEP_3)
	v_and_or_b32 v0, 0xffe, v4, v0
	v_cndmask_b32_e64 v6, 0, 1, vcc_lo
	v_sub_nc_u32_e32 v4, 0x3f1, v10
	v_add_nc_u32_e32 v10, 0xfffffc10, v10
	v_and_or_b32 v6, 0xffe, v9, v6
	v_med3_i32 v9, v11, 0, 13
	v_or_b32_e32 v11, 0x1000, v0
	v_med3_i32 v4, v4, 0, 13
	s_delay_alu instid0(VALU_DEP_4) | instskip(NEXT) | instid1(VALU_DEP_3)
	v_or_b32_e32 v12, 0x1000, v6
	v_lshrrev_b32_e32 v21, v9, v11
	s_delay_alu instid0(VALU_DEP_2) | instskip(NEXT) | instid1(VALU_DEP_2)
	v_lshrrev_b32_e32 v22, v4, v12
	v_lshlrev_b32_e32 v9, v9, v21
	s_delay_alu instid0(VALU_DEP_1) | instskip(SKIP_2) | instid1(VALU_DEP_1)
	v_cmp_ne_u32_e32 vcc_lo, v9, v11
	v_lshl_or_b32 v11, v8, 12, v0
	v_cndmask_b32_e64 v9, 0, 1, vcc_lo
	v_or_b32_e32 v9, v21, v9
	v_lshlrev_b32_e32 v4, v4, v22
	s_delay_alu instid0(VALU_DEP_1) | instskip(SKIP_3) | instid1(VALU_DEP_2)
	v_cmp_ne_u32_e32 vcc_lo, v4, v12
	v_lshl_or_b32 v12, v10, 12, v6
	v_cndmask_b32_e64 v4, 0, 1, vcc_lo
	v_cmp_gt_i32_e32 vcc_lo, 1, v8
	v_or_b32_e32 v4, v22, v4
	v_cndmask_b32_e32 v9, v11, v9, vcc_lo
	v_cmp_gt_i32_e32 vcc_lo, 1, v10
	s_delay_alu instid0(VALU_DEP_2) | instskip(SKIP_2) | instid1(VALU_DEP_3)
	v_dual_cndmask_b32 v4, v12, v4 :: v_dual_and_b32 v11, 7, v9
	v_cmp_ne_u32_e32 vcc_lo, 0, v0
	v_lshrrev_b32_e32 v9, 2, v9
	v_cmp_eq_u32_e64 s0, 3, v11
	v_cndmask_b32_e64 v0, 0, 1, vcc_lo
	v_cmp_ne_u32_e32 vcc_lo, 0, v6
	s_delay_alu instid0(VALU_DEP_2) | instskip(SKIP_2) | instid1(VALU_DEP_2)
	v_lshl_or_b32 v0, v0, 9, 0x7c00
	v_cndmask_b32_e64 v6, 0, 1, vcc_lo
	v_cmp_lt_i32_e32 vcc_lo, 5, v11
	v_lshl_or_b32 v6, v6, 9, 0x7c00
	s_or_b32 vcc_lo, s0, vcc_lo
	s_mul_i32 s0, s9, 0xffffe80c
	v_add_co_ci_u32_e32 v9, vcc_lo, 0, v9, vcc_lo
	v_and_b32_e32 v12, 7, v4
	v_lshrrev_b32_e32 v4, 2, v4
	s_sub_i32 s0, s0, s8
	s_delay_alu instid0(VALU_DEP_2) | instskip(SKIP_1) | instid1(VALU_DEP_1)
	v_cmp_lt_i32_e64 s1, 5, v12
	v_cmp_eq_u32_e64 s2, 3, v12
	s_or_b32 vcc_lo, s2, s1
	v_add_co_ci_u32_e32 v4, vcc_lo, 0, v4, vcc_lo
	v_cmp_gt_i32_e32 vcc_lo, 31, v8
	v_cndmask_b32_e32 v9, 0x7c00, v9, vcc_lo
	v_cmp_gt_i32_e32 vcc_lo, 31, v10
	s_delay_alu instid0(VALU_DEP_4) | instskip(SKIP_1) | instid1(VALU_DEP_4)
	v_cndmask_b32_e32 v4, 0x7c00, v4, vcc_lo
	v_cmp_eq_u32_e32 vcc_lo, 0x40f, v8
	v_cndmask_b32_e32 v0, v9, v0, vcc_lo
	v_cmp_eq_u32_e32 vcc_lo, 0x40f, v10
	s_delay_alu instid0(VALU_DEP_2) | instskip(SKIP_2) | instid1(VALU_DEP_3)
	v_and_or_b32 v0, 0x8000, v5, v0
	v_cndmask_b32_e32 v6, v4, v6, vcc_lo
	v_mad_u64_u32 v[4:5], null, 0xffffe80c, s8, v[2:3]
	v_and_b32_e32 v0, 0xffff, v0
	s_delay_alu instid0(VALU_DEP_3) | instskip(NEXT) | instid1(VALU_DEP_3)
	v_and_or_b32 v2, 0x8000, v7, v6
	v_add_nc_u32_e32 v5, s0, v5
	s_delay_alu instid0(VALU_DEP_2)
	v_lshl_or_b32 v0, v2, 16, v0
	v_lshrrev_b32_e32 v2, 16, v1
	global_store_b32 v[4:5], v0, off
	global_load_b32 v0, v[18:19], off offset:600
	s_waitcnt vmcnt(0)
	v_lshrrev_b32_e32 v3, 16, v0
	s_delay_alu instid0(VALU_DEP_1) | instskip(SKIP_1) | instid1(VALU_DEP_2)
	v_mul_f16_e32 v6, v2, v3
	v_mul_f16_e32 v3, v1, v3
	v_fmac_f16_e32 v6, v1, v0
	s_delay_alu instid0(VALU_DEP_2) | instskip(NEXT) | instid1(VALU_DEP_2)
	v_fma_f16 v0, v0, v2, -v3
	v_cvt_f32_f16_e32 v1, v6
	s_delay_alu instid0(VALU_DEP_2) | instskip(NEXT) | instid1(VALU_DEP_2)
	v_cvt_f32_f16_e32 v2, v0
	v_cvt_f64_f32_e32 v[0:1], v1
	s_delay_alu instid0(VALU_DEP_2) | instskip(NEXT) | instid1(VALU_DEP_2)
	v_cvt_f64_f32_e32 v[2:3], v2
	v_mul_f64 v[0:1], v[0:1], s[10:11]
	s_delay_alu instid0(VALU_DEP_2) | instskip(NEXT) | instid1(VALU_DEP_2)
	v_mul_f64 v[2:3], v[2:3], s[10:11]
	v_and_or_b32 v0, 0x1ff, v1, v0
	s_delay_alu instid0(VALU_DEP_2)
	v_and_or_b32 v2, 0x1ff, v3, v2
	v_lshrrev_b32_e32 v6, 8, v1
	v_bfe_u32 v7, v1, 20, 11
	v_lshrrev_b32_e32 v8, 8, v3
	v_cmp_ne_u32_e32 vcc_lo, 0, v0
	v_bfe_u32 v9, v3, 20, 11
	v_lshrrev_b32_e32 v1, 16, v1
	v_sub_nc_u32_e32 v10, 0x3f1, v7
	v_add_nc_u32_e32 v7, 0xfffffc10, v7
	v_cndmask_b32_e64 v0, 0, 1, vcc_lo
	v_cmp_ne_u32_e32 vcc_lo, 0, v2
	v_lshrrev_b32_e32 v3, 16, v3
	s_delay_alu instid0(VALU_DEP_3) | instskip(SKIP_2) | instid1(VALU_DEP_2)
	v_and_or_b32 v0, 0xffe, v6, v0
	v_cndmask_b32_e64 v2, 0, 1, vcc_lo
	v_sub_nc_u32_e32 v6, 0x3f1, v9
	v_and_or_b32 v2, 0xffe, v8, v2
	v_med3_i32 v8, v10, 0, 13
	v_or_b32_e32 v10, 0x1000, v0
	s_delay_alu instid0(VALU_DEP_4) | instskip(NEXT) | instid1(VALU_DEP_4)
	v_med3_i32 v6, v6, 0, 13
	v_or_b32_e32 v11, 0x1000, v2
	s_delay_alu instid0(VALU_DEP_3) | instskip(NEXT) | instid1(VALU_DEP_2)
	v_lshrrev_b32_e32 v12, v8, v10
	v_lshrrev_b32_e32 v21, v6, v11
	s_delay_alu instid0(VALU_DEP_2) | instskip(NEXT) | instid1(VALU_DEP_2)
	v_lshlrev_b32_e32 v8, v8, v12
	v_lshlrev_b32_e32 v6, v6, v21
	s_delay_alu instid0(VALU_DEP_2) | instskip(SKIP_2) | instid1(VALU_DEP_4)
	v_cmp_ne_u32_e32 vcc_lo, v8, v10
	v_lshl_or_b32 v10, v7, 12, v0
	v_cndmask_b32_e64 v8, 0, 1, vcc_lo
	v_cmp_ne_u32_e32 vcc_lo, v6, v11
	s_delay_alu instid0(VALU_DEP_2) | instskip(SKIP_3) | instid1(VALU_DEP_3)
	v_or_b32_e32 v8, v12, v8
	v_cndmask_b32_e64 v6, 0, 1, vcc_lo
	v_cmp_gt_i32_e32 vcc_lo, 1, v7
	v_add_nc_u32_e32 v9, 0xfffffc10, v9
	v_or_b32_e32 v6, v21, v6
	v_cndmask_b32_e32 v8, v10, v8, vcc_lo
	s_delay_alu instid0(VALU_DEP_3) | instskip(SKIP_1) | instid1(VALU_DEP_3)
	v_lshl_or_b32 v11, v9, 12, v2
	v_cmp_gt_i32_e32 vcc_lo, 1, v9
	v_and_b32_e32 v10, 7, v8
	v_lshrrev_b32_e32 v8, 2, v8
	s_delay_alu instid0(VALU_DEP_4) | instskip(SKIP_1) | instid1(VALU_DEP_4)
	v_cndmask_b32_e32 v6, v11, v6, vcc_lo
	v_cmp_ne_u32_e32 vcc_lo, 0, v0
	v_cmp_eq_u32_e64 s0, 3, v10
	v_cndmask_b32_e64 v0, 0, 1, vcc_lo
	v_cmp_ne_u32_e32 vcc_lo, 0, v2
	s_delay_alu instid0(VALU_DEP_2) | instskip(SKIP_2) | instid1(VALU_DEP_2)
	v_lshl_or_b32 v0, v0, 9, 0x7c00
	v_cndmask_b32_e64 v2, 0, 1, vcc_lo
	v_cmp_lt_i32_e32 vcc_lo, 5, v10
	v_lshl_or_b32 v2, v2, 9, 0x7c00
	s_or_b32 vcc_lo, s0, vcc_lo
	v_add_co_ci_u32_e32 v8, vcc_lo, 0, v8, vcc_lo
	v_and_b32_e32 v11, 7, v6
	v_lshrrev_b32_e32 v6, 2, v6
	s_delay_alu instid0(VALU_DEP_2) | instskip(SKIP_1) | instid1(VALU_DEP_1)
	v_cmp_lt_i32_e64 s1, 5, v11
	v_cmp_eq_u32_e64 s2, 3, v11
	s_or_b32 vcc_lo, s2, s1
	s_delay_alu instid0(VALU_DEP_3) | instskip(SKIP_3) | instid1(VALU_DEP_4)
	v_add_co_ci_u32_e32 v6, vcc_lo, 0, v6, vcc_lo
	v_cmp_gt_i32_e32 vcc_lo, 31, v7
	v_cndmask_b32_e32 v8, 0x7c00, v8, vcc_lo
	v_cmp_gt_i32_e32 vcc_lo, 31, v9
	v_cndmask_b32_e32 v6, 0x7c00, v6, vcc_lo
	v_cmp_eq_u32_e32 vcc_lo, 0x40f, v7
	s_delay_alu instid0(VALU_DEP_4) | instskip(SKIP_1) | instid1(VALU_DEP_2)
	v_cndmask_b32_e32 v0, v8, v0, vcc_lo
	v_cmp_eq_u32_e32 vcc_lo, 0x40f, v9
	v_and_or_b32 v0, 0x8000, v1, v0
	v_cndmask_b32_e32 v2, v6, v2, vcc_lo
	s_delay_alu instid0(VALU_DEP_1) | instskip(NEXT) | instid1(VALU_DEP_3)
	v_and_or_b32 v2, 0x8000, v3, v2
	v_and_b32_e32 v3, 0xffff, v0
	v_add_co_u32 v0, vcc_lo, v4, s14
	v_add_co_ci_u32_e32 v1, vcc_lo, s15, v5, vcc_lo
	s_delay_alu instid0(VALU_DEP_3)
	v_lshl_or_b32 v2, v2, 16, v3
	global_store_b32 v[0:1], v2, off
	global_load_b32 v4, v[18:19], off offset:996
	ds_load_2addr_b32 v[2:3], v15 offset0:121 offset1:220
	s_waitcnt lgkmcnt(0)
	v_lshrrev_b32_e32 v5, 16, v2
	s_waitcnt vmcnt(0)
	v_lshrrev_b32_e32 v6, 16, v4
	s_delay_alu instid0(VALU_DEP_1) | instskip(SKIP_1) | instid1(VALU_DEP_2)
	v_mul_f16_e32 v7, v5, v6
	v_mul_f16_e32 v6, v2, v6
	v_fmac_f16_e32 v7, v2, v4
	s_delay_alu instid0(VALU_DEP_2) | instskip(NEXT) | instid1(VALU_DEP_2)
	v_fma_f16 v2, v4, v5, -v6
	v_cvt_f32_f16_e32 v4, v7
	s_delay_alu instid0(VALU_DEP_2) | instskip(NEXT) | instid1(VALU_DEP_2)
	v_cvt_f32_f16_e32 v2, v2
	v_cvt_f64_f32_e32 v[4:5], v4
	s_delay_alu instid0(VALU_DEP_2) | instskip(NEXT) | instid1(VALU_DEP_2)
	v_cvt_f64_f32_e32 v[6:7], v2
	v_mul_f64 v[4:5], v[4:5], s[10:11]
	s_delay_alu instid0(VALU_DEP_2) | instskip(NEXT) | instid1(VALU_DEP_2)
	v_mul_f64 v[6:7], v[6:7], s[10:11]
	v_and_or_b32 v2, 0x1ff, v5, v4
	s_delay_alu instid0(VALU_DEP_2)
	v_and_or_b32 v6, 0x1ff, v7, v6
	v_lshrrev_b32_e32 v4, 8, v5
	v_bfe_u32 v8, v5, 20, 11
	v_lshrrev_b32_e32 v9, 8, v7
	v_cmp_ne_u32_e32 vcc_lo, 0, v2
	v_bfe_u32 v10, v7, 20, 11
	v_lshrrev_b32_e32 v5, 16, v5
	v_sub_nc_u32_e32 v11, 0x3f1, v8
	v_add_nc_u32_e32 v8, 0xfffffc10, v8
	v_cndmask_b32_e64 v2, 0, 1, vcc_lo
	v_cmp_ne_u32_e32 vcc_lo, 0, v6
	v_lshrrev_b32_e32 v7, 16, v7
	s_delay_alu instid0(VALU_DEP_3) | instskip(SKIP_3) | instid1(VALU_DEP_3)
	v_and_or_b32 v2, 0xffe, v4, v2
	v_cndmask_b32_e64 v6, 0, 1, vcc_lo
	v_sub_nc_u32_e32 v4, 0x3f1, v10
	v_add_nc_u32_e32 v10, 0xfffffc10, v10
	v_and_or_b32 v6, 0xffe, v9, v6
	v_med3_i32 v9, v11, 0, 13
	v_or_b32_e32 v11, 0x1000, v2
	v_med3_i32 v4, v4, 0, 13
	s_delay_alu instid0(VALU_DEP_4) | instskip(NEXT) | instid1(VALU_DEP_3)
	v_or_b32_e32 v12, 0x1000, v6
	v_lshrrev_b32_e32 v15, v9, v11
	s_delay_alu instid0(VALU_DEP_2) | instskip(NEXT) | instid1(VALU_DEP_2)
	v_lshrrev_b32_e32 v21, v4, v12
	v_lshlrev_b32_e32 v9, v9, v15
	s_delay_alu instid0(VALU_DEP_2) | instskip(NEXT) | instid1(VALU_DEP_2)
	v_lshlrev_b32_e32 v4, v4, v21
	v_cmp_ne_u32_e32 vcc_lo, v9, v11
	v_lshl_or_b32 v11, v8, 12, v2
	v_cndmask_b32_e64 v9, 0, 1, vcc_lo
	s_delay_alu instid0(VALU_DEP_4) | instskip(SKIP_1) | instid1(VALU_DEP_3)
	v_cmp_ne_u32_e32 vcc_lo, v4, v12
	v_lshl_or_b32 v12, v10, 12, v6
	v_or_b32_e32 v9, v15, v9
	v_cndmask_b32_e64 v4, 0, 1, vcc_lo
	v_cmp_gt_i32_e32 vcc_lo, 1, v8
	s_delay_alu instid0(VALU_DEP_2) | instskip(NEXT) | instid1(VALU_DEP_4)
	v_or_b32_e32 v4, v21, v4
	v_cndmask_b32_e32 v9, v11, v9, vcc_lo
	v_cmp_gt_i32_e32 vcc_lo, 1, v10
	s_delay_alu instid0(VALU_DEP_2) | instskip(SKIP_2) | instid1(VALU_DEP_3)
	v_dual_cndmask_b32 v4, v12, v4 :: v_dual_and_b32 v11, 7, v9
	v_cmp_ne_u32_e32 vcc_lo, 0, v2
	v_lshrrev_b32_e32 v9, 2, v9
	v_cmp_eq_u32_e64 s0, 3, v11
	s_delay_alu instid0(VALU_DEP_4) | instskip(SKIP_3) | instid1(VALU_DEP_4)
	v_and_b32_e32 v12, 7, v4
	v_cndmask_b32_e64 v2, 0, 1, vcc_lo
	v_cmp_ne_u32_e32 vcc_lo, 0, v6
	v_lshrrev_b32_e32 v4, 2, v4
	v_cmp_lt_i32_e64 s1, 5, v12
	v_cmp_eq_u32_e64 s2, 3, v12
	v_cndmask_b32_e64 v6, 0, 1, vcc_lo
	v_cmp_lt_i32_e32 vcc_lo, 5, v11
	v_lshl_or_b32 v2, v2, 9, 0x7c00
	s_delay_alu instid0(VALU_DEP_3)
	v_lshl_or_b32 v6, v6, 9, 0x7c00
	s_or_b32 vcc_lo, s0, vcc_lo
	v_add_co_ci_u32_e32 v9, vcc_lo, 0, v9, vcc_lo
	s_or_b32 vcc_lo, s2, s1
	v_add_co_ci_u32_e32 v4, vcc_lo, 0, v4, vcc_lo
	v_cmp_gt_i32_e32 vcc_lo, 31, v8
	s_delay_alu instid0(VALU_DEP_3) | instskip(SKIP_1) | instid1(VALU_DEP_4)
	v_cndmask_b32_e32 v9, 0x7c00, v9, vcc_lo
	v_cmp_gt_i32_e32 vcc_lo, 31, v10
	v_cndmask_b32_e32 v4, 0x7c00, v4, vcc_lo
	v_cmp_eq_u32_e32 vcc_lo, 0x40f, v8
	s_delay_alu instid0(VALU_DEP_4) | instskip(SKIP_1) | instid1(VALU_DEP_2)
	v_cndmask_b32_e32 v2, v9, v2, vcc_lo
	v_cmp_eq_u32_e32 vcc_lo, 0x40f, v10
	v_and_or_b32 v2, 0x8000, v5, v2
	v_cndmask_b32_e32 v4, v4, v6, vcc_lo
	v_add_co_u32 v0, vcc_lo, v0, s14
	v_add_co_ci_u32_e32 v1, vcc_lo, s15, v1, vcc_lo
	s_delay_alu instid0(VALU_DEP_3) | instskip(SKIP_1) | instid1(VALU_DEP_1)
	v_and_or_b32 v4, 0x8000, v7, v4
	v_and_b32_e32 v2, 0xffff, v2
	v_lshl_or_b32 v2, v4, 16, v2
	v_lshrrev_b32_e32 v4, 16, v3
	global_store_b32 v[0:1], v2, off
	global_load_b32 v2, v[18:19], off offset:1392
	s_waitcnt vmcnt(0)
	v_lshrrev_b32_e32 v5, 16, v2
	s_delay_alu instid0(VALU_DEP_1) | instskip(SKIP_1) | instid1(VALU_DEP_2)
	v_mul_f16_e32 v6, v4, v5
	v_mul_f16_e32 v5, v3, v5
	v_fmac_f16_e32 v6, v3, v2
	s_delay_alu instid0(VALU_DEP_2) | instskip(NEXT) | instid1(VALU_DEP_2)
	v_fma_f16 v2, v2, v4, -v5
	v_cvt_f32_f16_e32 v3, v6
	s_delay_alu instid0(VALU_DEP_2) | instskip(NEXT) | instid1(VALU_DEP_2)
	v_cvt_f32_f16_e32 v4, v2
	v_cvt_f64_f32_e32 v[2:3], v3
	s_delay_alu instid0(VALU_DEP_2) | instskip(NEXT) | instid1(VALU_DEP_2)
	v_cvt_f64_f32_e32 v[4:5], v4
	v_mul_f64 v[2:3], v[2:3], s[10:11]
	s_delay_alu instid0(VALU_DEP_2) | instskip(NEXT) | instid1(VALU_DEP_2)
	v_mul_f64 v[4:5], v[4:5], s[10:11]
	v_and_or_b32 v2, 0x1ff, v3, v2
	s_delay_alu instid0(VALU_DEP_2)
	v_and_or_b32 v4, 0x1ff, v5, v4
	v_lshrrev_b32_e32 v6, 8, v3
	v_bfe_u32 v7, v3, 20, 11
	v_lshrrev_b32_e32 v8, 8, v5
	v_cmp_ne_u32_e32 vcc_lo, 0, v2
	v_bfe_u32 v9, v5, 20, 11
	v_lshrrev_b32_e32 v3, 16, v3
	v_sub_nc_u32_e32 v10, 0x3f1, v7
	v_add_nc_u32_e32 v7, 0xfffffc10, v7
	v_cndmask_b32_e64 v2, 0, 1, vcc_lo
	v_cmp_ne_u32_e32 vcc_lo, 0, v4
	v_lshrrev_b32_e32 v5, 16, v5
	s_delay_alu instid0(VALU_DEP_3) | instskip(SKIP_3) | instid1(VALU_DEP_3)
	v_and_or_b32 v2, 0xffe, v6, v2
	v_cndmask_b32_e64 v4, 0, 1, vcc_lo
	v_sub_nc_u32_e32 v6, 0x3f1, v9
	v_add_nc_u32_e32 v9, 0xfffffc10, v9
	v_and_or_b32 v4, 0xffe, v8, v4
	v_med3_i32 v8, v10, 0, 13
	v_or_b32_e32 v10, 0x1000, v2
	v_med3_i32 v6, v6, 0, 13
	s_delay_alu instid0(VALU_DEP_4) | instskip(NEXT) | instid1(VALU_DEP_3)
	v_or_b32_e32 v11, 0x1000, v4
	v_lshrrev_b32_e32 v12, v8, v10
	s_delay_alu instid0(VALU_DEP_2) | instskip(NEXT) | instid1(VALU_DEP_2)
	v_lshrrev_b32_e32 v15, v6, v11
	v_lshlrev_b32_e32 v8, v8, v12
	s_delay_alu instid0(VALU_DEP_2) | instskip(NEXT) | instid1(VALU_DEP_2)
	v_lshlrev_b32_e32 v6, v6, v15
	v_cmp_ne_u32_e32 vcc_lo, v8, v10
	v_lshl_or_b32 v10, v7, 12, v2
	v_cndmask_b32_e64 v8, 0, 1, vcc_lo
	s_delay_alu instid0(VALU_DEP_4) | instskip(SKIP_1) | instid1(VALU_DEP_3)
	v_cmp_ne_u32_e32 vcc_lo, v6, v11
	v_lshl_or_b32 v11, v9, 12, v4
	v_or_b32_e32 v8, v12, v8
	v_cndmask_b32_e64 v6, 0, 1, vcc_lo
	v_cmp_gt_i32_e32 vcc_lo, 1, v7
	s_delay_alu instid0(VALU_DEP_2) | instskip(NEXT) | instid1(VALU_DEP_4)
	v_or_b32_e32 v6, v15, v6
	v_cndmask_b32_e32 v8, v10, v8, vcc_lo
	v_cmp_gt_i32_e32 vcc_lo, 1, v9
	s_delay_alu instid0(VALU_DEP_2) | instskip(NEXT) | instid1(VALU_DEP_4)
	v_and_b32_e32 v10, 7, v8
	v_cndmask_b32_e32 v6, v11, v6, vcc_lo
	v_cmp_ne_u32_e32 vcc_lo, 0, v2
	v_lshrrev_b32_e32 v8, 2, v8
	s_delay_alu instid0(VALU_DEP_4) | instskip(NEXT) | instid1(VALU_DEP_4)
	v_cmp_eq_u32_e64 s0, 3, v10
	v_and_b32_e32 v11, 7, v6
	v_cndmask_b32_e64 v2, 0, 1, vcc_lo
	v_cmp_ne_u32_e32 vcc_lo, 0, v4
	v_lshrrev_b32_e32 v6, 2, v6
	s_delay_alu instid0(VALU_DEP_4) | instskip(SKIP_4) | instid1(VALU_DEP_3)
	v_cmp_lt_i32_e64 s1, 5, v11
	v_cmp_eq_u32_e64 s2, 3, v11
	v_cndmask_b32_e64 v4, 0, 1, vcc_lo
	v_cmp_lt_i32_e32 vcc_lo, 5, v10
	v_lshl_or_b32 v2, v2, 9, 0x7c00
	v_lshl_or_b32 v4, v4, 9, 0x7c00
	s_or_b32 vcc_lo, s0, vcc_lo
	v_add_co_ci_u32_e32 v8, vcc_lo, 0, v8, vcc_lo
	s_or_b32 vcc_lo, s2, s1
	v_add_co_ci_u32_e32 v6, vcc_lo, 0, v6, vcc_lo
	v_cmp_gt_i32_e32 vcc_lo, 31, v7
	s_delay_alu instid0(VALU_DEP_3) | instskip(SKIP_1) | instid1(VALU_DEP_4)
	v_cndmask_b32_e32 v8, 0x7c00, v8, vcc_lo
	v_cmp_gt_i32_e32 vcc_lo, 31, v9
	v_cndmask_b32_e32 v6, 0x7c00, v6, vcc_lo
	v_cmp_eq_u32_e32 vcc_lo, 0x40f, v7
	s_delay_alu instid0(VALU_DEP_4) | instskip(SKIP_1) | instid1(VALU_DEP_2)
	v_cndmask_b32_e32 v2, v8, v2, vcc_lo
	v_cmp_eq_u32_e32 vcc_lo, 0x40f, v9
	v_and_or_b32 v2, 0x8000, v3, v2
	v_cndmask_b32_e32 v4, v6, v4, vcc_lo
	v_add_co_u32 v0, vcc_lo, v0, s14
	v_add_co_ci_u32_e32 v1, vcc_lo, s15, v1, vcc_lo
	s_delay_alu instid0(VALU_DEP_3) | instskip(SKIP_1) | instid1(VALU_DEP_1)
	v_and_or_b32 v3, 0x8000, v5, v4
	v_and_b32_e32 v2, 0xffff, v2
	v_lshl_or_b32 v2, v3, 16, v2
	global_store_b32 v[0:1], v2, off
	global_load_b32 v4, v[18:19], off offset:1788
	ds_load_2addr_b32 v[2:3], v25 offset0:63 offset1:162
	s_waitcnt lgkmcnt(0)
	v_lshrrev_b32_e32 v5, 16, v2
	s_waitcnt vmcnt(0)
	v_lshrrev_b32_e32 v6, 16, v4
	s_delay_alu instid0(VALU_DEP_1) | instskip(SKIP_1) | instid1(VALU_DEP_2)
	v_mul_f16_e32 v7, v5, v6
	v_mul_f16_e32 v6, v2, v6
	v_fmac_f16_e32 v7, v2, v4
	s_delay_alu instid0(VALU_DEP_2) | instskip(NEXT) | instid1(VALU_DEP_2)
	v_fma_f16 v2, v4, v5, -v6
	v_cvt_f32_f16_e32 v4, v7
	s_delay_alu instid0(VALU_DEP_2) | instskip(NEXT) | instid1(VALU_DEP_2)
	v_cvt_f32_f16_e32 v2, v2
	v_cvt_f64_f32_e32 v[4:5], v4
	s_delay_alu instid0(VALU_DEP_2) | instskip(NEXT) | instid1(VALU_DEP_2)
	v_cvt_f64_f32_e32 v[6:7], v2
	v_mul_f64 v[4:5], v[4:5], s[10:11]
	s_delay_alu instid0(VALU_DEP_2) | instskip(NEXT) | instid1(VALU_DEP_2)
	v_mul_f64 v[6:7], v[6:7], s[10:11]
	v_and_or_b32 v2, 0x1ff, v5, v4
	s_delay_alu instid0(VALU_DEP_2)
	v_and_or_b32 v6, 0x1ff, v7, v6
	v_lshrrev_b32_e32 v4, 8, v5
	v_bfe_u32 v8, v5, 20, 11
	v_lshrrev_b32_e32 v9, 8, v7
	v_cmp_ne_u32_e32 vcc_lo, 0, v2
	v_bfe_u32 v10, v7, 20, 11
	v_lshrrev_b32_e32 v5, 16, v5
	v_sub_nc_u32_e32 v11, 0x3f1, v8
	v_add_nc_u32_e32 v8, 0xfffffc10, v8
	v_cndmask_b32_e64 v2, 0, 1, vcc_lo
	v_cmp_ne_u32_e32 vcc_lo, 0, v6
	v_lshrrev_b32_e32 v7, 16, v7
	s_delay_alu instid0(VALU_DEP_3) | instskip(SKIP_3) | instid1(VALU_DEP_3)
	v_and_or_b32 v2, 0xffe, v4, v2
	v_cndmask_b32_e64 v6, 0, 1, vcc_lo
	v_sub_nc_u32_e32 v4, 0x3f1, v10
	v_add_nc_u32_e32 v10, 0xfffffc10, v10
	v_and_or_b32 v6, 0xffe, v9, v6
	v_med3_i32 v9, v11, 0, 13
	v_or_b32_e32 v11, 0x1000, v2
	v_med3_i32 v4, v4, 0, 13
	s_delay_alu instid0(VALU_DEP_4) | instskip(NEXT) | instid1(VALU_DEP_3)
	v_or_b32_e32 v12, 0x1000, v6
	v_lshrrev_b32_e32 v15, v9, v11
	s_delay_alu instid0(VALU_DEP_2) | instskip(NEXT) | instid1(VALU_DEP_2)
	v_lshrrev_b32_e32 v21, v4, v12
	v_lshlrev_b32_e32 v9, v9, v15
	s_delay_alu instid0(VALU_DEP_2) | instskip(NEXT) | instid1(VALU_DEP_2)
	v_lshlrev_b32_e32 v4, v4, v21
	v_cmp_ne_u32_e32 vcc_lo, v9, v11
	v_lshl_or_b32 v11, v8, 12, v2
	v_cndmask_b32_e64 v9, 0, 1, vcc_lo
	s_delay_alu instid0(VALU_DEP_4) | instskip(SKIP_1) | instid1(VALU_DEP_3)
	v_cmp_ne_u32_e32 vcc_lo, v4, v12
	v_lshl_or_b32 v12, v10, 12, v6
	v_or_b32_e32 v9, v15, v9
	v_cndmask_b32_e64 v4, 0, 1, vcc_lo
	v_cmp_gt_i32_e32 vcc_lo, 1, v8
	s_delay_alu instid0(VALU_DEP_2) | instskip(NEXT) | instid1(VALU_DEP_4)
	v_or_b32_e32 v4, v21, v4
	v_cndmask_b32_e32 v9, v11, v9, vcc_lo
	v_cmp_gt_i32_e32 vcc_lo, 1, v10
	s_delay_alu instid0(VALU_DEP_2) | instskip(SKIP_2) | instid1(VALU_DEP_3)
	v_dual_cndmask_b32 v4, v12, v4 :: v_dual_and_b32 v11, 7, v9
	v_cmp_ne_u32_e32 vcc_lo, 0, v2
	v_lshrrev_b32_e32 v9, 2, v9
	v_cmp_eq_u32_e64 s0, 3, v11
	s_delay_alu instid0(VALU_DEP_4) | instskip(SKIP_3) | instid1(VALU_DEP_4)
	v_and_b32_e32 v12, 7, v4
	v_cndmask_b32_e64 v2, 0, 1, vcc_lo
	v_cmp_ne_u32_e32 vcc_lo, 0, v6
	v_lshrrev_b32_e32 v4, 2, v4
	v_cmp_lt_i32_e64 s1, 5, v12
	v_cmp_eq_u32_e64 s2, 3, v12
	v_cndmask_b32_e64 v6, 0, 1, vcc_lo
	v_cmp_lt_i32_e32 vcc_lo, 5, v11
	v_lshl_or_b32 v2, v2, 9, 0x7c00
	s_delay_alu instid0(VALU_DEP_3)
	v_lshl_or_b32 v6, v6, 9, 0x7c00
	s_or_b32 vcc_lo, s0, vcc_lo
	v_add_co_ci_u32_e32 v9, vcc_lo, 0, v9, vcc_lo
	s_or_b32 vcc_lo, s2, s1
	v_add_co_ci_u32_e32 v4, vcc_lo, 0, v4, vcc_lo
	v_cmp_gt_i32_e32 vcc_lo, 31, v8
	s_delay_alu instid0(VALU_DEP_3) | instskip(SKIP_1) | instid1(VALU_DEP_4)
	v_cndmask_b32_e32 v9, 0x7c00, v9, vcc_lo
	v_cmp_gt_i32_e32 vcc_lo, 31, v10
	v_cndmask_b32_e32 v4, 0x7c00, v4, vcc_lo
	v_cmp_eq_u32_e32 vcc_lo, 0x40f, v8
	s_delay_alu instid0(VALU_DEP_4) | instskip(SKIP_1) | instid1(VALU_DEP_2)
	v_cndmask_b32_e32 v2, v9, v2, vcc_lo
	v_cmp_eq_u32_e32 vcc_lo, 0x40f, v10
	v_and_or_b32 v2, 0x8000, v5, v2
	v_cndmask_b32_e32 v4, v4, v6, vcc_lo
	v_add_co_u32 v0, vcc_lo, v0, s14
	v_add_co_ci_u32_e32 v1, vcc_lo, s15, v1, vcc_lo
	s_delay_alu instid0(VALU_DEP_3) | instskip(SKIP_1) | instid1(VALU_DEP_1)
	v_and_or_b32 v4, 0x8000, v7, v4
	v_and_b32_e32 v2, 0xffff, v2
	v_lshl_or_b32 v2, v4, 16, v2
	v_lshrrev_b32_e32 v4, 16, v3
	global_store_b32 v[0:1], v2, off
	global_load_b32 v2, v[18:19], off offset:2184
	s_waitcnt vmcnt(0)
	v_lshrrev_b32_e32 v5, 16, v2
	s_delay_alu instid0(VALU_DEP_1) | instskip(SKIP_1) | instid1(VALU_DEP_2)
	v_mul_f16_e32 v6, v4, v5
	v_mul_f16_e32 v5, v3, v5
	v_fmac_f16_e32 v6, v3, v2
	s_delay_alu instid0(VALU_DEP_2) | instskip(NEXT) | instid1(VALU_DEP_2)
	v_fma_f16 v2, v2, v4, -v5
	v_cvt_f32_f16_e32 v3, v6
	s_delay_alu instid0(VALU_DEP_2) | instskip(NEXT) | instid1(VALU_DEP_2)
	v_cvt_f32_f16_e32 v4, v2
	v_cvt_f64_f32_e32 v[2:3], v3
	s_delay_alu instid0(VALU_DEP_2) | instskip(NEXT) | instid1(VALU_DEP_2)
	v_cvt_f64_f32_e32 v[4:5], v4
	v_mul_f64 v[2:3], v[2:3], s[10:11]
	s_delay_alu instid0(VALU_DEP_2) | instskip(NEXT) | instid1(VALU_DEP_2)
	v_mul_f64 v[4:5], v[4:5], s[10:11]
	v_and_or_b32 v2, 0x1ff, v3, v2
	s_delay_alu instid0(VALU_DEP_2)
	v_and_or_b32 v4, 0x1ff, v5, v4
	v_lshrrev_b32_e32 v6, 8, v3
	v_bfe_u32 v7, v3, 20, 11
	v_lshrrev_b32_e32 v8, 8, v5
	v_cmp_ne_u32_e32 vcc_lo, 0, v2
	v_bfe_u32 v9, v5, 20, 11
	v_lshrrev_b32_e32 v3, 16, v3
	v_sub_nc_u32_e32 v10, 0x3f1, v7
	v_add_nc_u32_e32 v7, 0xfffffc10, v7
	v_cndmask_b32_e64 v2, 0, 1, vcc_lo
	v_cmp_ne_u32_e32 vcc_lo, 0, v4
	v_lshrrev_b32_e32 v5, 16, v5
	s_delay_alu instid0(VALU_DEP_3) | instskip(SKIP_3) | instid1(VALU_DEP_3)
	v_and_or_b32 v2, 0xffe, v6, v2
	v_cndmask_b32_e64 v4, 0, 1, vcc_lo
	v_sub_nc_u32_e32 v6, 0x3f1, v9
	v_add_nc_u32_e32 v9, 0xfffffc10, v9
	v_and_or_b32 v4, 0xffe, v8, v4
	v_med3_i32 v8, v10, 0, 13
	v_or_b32_e32 v10, 0x1000, v2
	v_med3_i32 v6, v6, 0, 13
	s_delay_alu instid0(VALU_DEP_4) | instskip(NEXT) | instid1(VALU_DEP_3)
	v_or_b32_e32 v11, 0x1000, v4
	v_lshrrev_b32_e32 v12, v8, v10
	s_delay_alu instid0(VALU_DEP_2) | instskip(NEXT) | instid1(VALU_DEP_2)
	v_lshrrev_b32_e32 v15, v6, v11
	v_lshlrev_b32_e32 v8, v8, v12
	s_delay_alu instid0(VALU_DEP_2) | instskip(NEXT) | instid1(VALU_DEP_2)
	v_lshlrev_b32_e32 v6, v6, v15
	v_cmp_ne_u32_e32 vcc_lo, v8, v10
	v_lshl_or_b32 v10, v7, 12, v2
	v_cndmask_b32_e64 v8, 0, 1, vcc_lo
	s_delay_alu instid0(VALU_DEP_4) | instskip(SKIP_1) | instid1(VALU_DEP_3)
	v_cmp_ne_u32_e32 vcc_lo, v6, v11
	v_lshl_or_b32 v11, v9, 12, v4
	v_or_b32_e32 v8, v12, v8
	v_cndmask_b32_e64 v6, 0, 1, vcc_lo
	v_cmp_gt_i32_e32 vcc_lo, 1, v7
	s_delay_alu instid0(VALU_DEP_2) | instskip(NEXT) | instid1(VALU_DEP_4)
	v_or_b32_e32 v6, v15, v6
	v_cndmask_b32_e32 v8, v10, v8, vcc_lo
	v_cmp_gt_i32_e32 vcc_lo, 1, v9
	s_delay_alu instid0(VALU_DEP_2) | instskip(NEXT) | instid1(VALU_DEP_4)
	v_and_b32_e32 v10, 7, v8
	v_cndmask_b32_e32 v6, v11, v6, vcc_lo
	v_cmp_ne_u32_e32 vcc_lo, 0, v2
	v_lshrrev_b32_e32 v8, 2, v8
	s_delay_alu instid0(VALU_DEP_4) | instskip(NEXT) | instid1(VALU_DEP_4)
	v_cmp_eq_u32_e64 s0, 3, v10
	v_and_b32_e32 v11, 7, v6
	v_cndmask_b32_e64 v2, 0, 1, vcc_lo
	v_cmp_ne_u32_e32 vcc_lo, 0, v4
	v_lshrrev_b32_e32 v6, 2, v6
	s_delay_alu instid0(VALU_DEP_4) | instskip(SKIP_4) | instid1(VALU_DEP_3)
	v_cmp_lt_i32_e64 s1, 5, v11
	v_cmp_eq_u32_e64 s2, 3, v11
	v_cndmask_b32_e64 v4, 0, 1, vcc_lo
	v_cmp_lt_i32_e32 vcc_lo, 5, v10
	v_lshl_or_b32 v2, v2, 9, 0x7c00
	v_lshl_or_b32 v4, v4, 9, 0x7c00
	s_or_b32 vcc_lo, s0, vcc_lo
	v_add_co_ci_u32_e32 v8, vcc_lo, 0, v8, vcc_lo
	s_or_b32 vcc_lo, s2, s1
	v_add_co_ci_u32_e32 v6, vcc_lo, 0, v6, vcc_lo
	v_cmp_gt_i32_e32 vcc_lo, 31, v7
	s_delay_alu instid0(VALU_DEP_3) | instskip(SKIP_1) | instid1(VALU_DEP_4)
	v_cndmask_b32_e32 v8, 0x7c00, v8, vcc_lo
	v_cmp_gt_i32_e32 vcc_lo, 31, v9
	v_cndmask_b32_e32 v6, 0x7c00, v6, vcc_lo
	v_cmp_eq_u32_e32 vcc_lo, 0x40f, v7
	s_delay_alu instid0(VALU_DEP_4) | instskip(SKIP_1) | instid1(VALU_DEP_2)
	v_cndmask_b32_e32 v2, v8, v2, vcc_lo
	v_cmp_eq_u32_e32 vcc_lo, 0x40f, v9
	v_and_or_b32 v2, 0x8000, v3, v2
	v_cndmask_b32_e32 v4, v6, v4, vcc_lo
	v_add_co_u32 v0, vcc_lo, v0, s14
	v_add_co_ci_u32_e32 v1, vcc_lo, s15, v1, vcc_lo
	s_delay_alu instid0(VALU_DEP_3) | instskip(SKIP_1) | instid1(VALU_DEP_1)
	v_and_or_b32 v3, 0x8000, v5, v4
	v_and_b32_e32 v2, 0xffff, v2
	v_lshl_or_b32 v2, v3, 16, v2
	global_store_b32 v[0:1], v2, off
	global_load_b32 v4, v[18:19], off offset:2580
	ds_load_2addr_b32 v[2:3], v31 offset0:133 offset1:232
	s_waitcnt lgkmcnt(0)
	v_lshrrev_b32_e32 v5, 16, v2
	s_waitcnt vmcnt(0)
	v_lshrrev_b32_e32 v6, 16, v4
	s_delay_alu instid0(VALU_DEP_1) | instskip(SKIP_1) | instid1(VALU_DEP_2)
	v_mul_f16_e32 v7, v5, v6
	v_mul_f16_e32 v6, v2, v6
	v_fmac_f16_e32 v7, v2, v4
	s_delay_alu instid0(VALU_DEP_2) | instskip(NEXT) | instid1(VALU_DEP_2)
	v_fma_f16 v2, v4, v5, -v6
	v_cvt_f32_f16_e32 v4, v7
	s_delay_alu instid0(VALU_DEP_2) | instskip(NEXT) | instid1(VALU_DEP_2)
	v_cvt_f32_f16_e32 v2, v2
	v_cvt_f64_f32_e32 v[4:5], v4
	s_delay_alu instid0(VALU_DEP_2) | instskip(NEXT) | instid1(VALU_DEP_2)
	v_cvt_f64_f32_e32 v[6:7], v2
	v_mul_f64 v[4:5], v[4:5], s[10:11]
	s_delay_alu instid0(VALU_DEP_2) | instskip(NEXT) | instid1(VALU_DEP_2)
	v_mul_f64 v[6:7], v[6:7], s[10:11]
	v_and_or_b32 v2, 0x1ff, v5, v4
	s_delay_alu instid0(VALU_DEP_2)
	v_and_or_b32 v6, 0x1ff, v7, v6
	v_lshrrev_b32_e32 v4, 8, v5
	v_bfe_u32 v8, v5, 20, 11
	v_lshrrev_b32_e32 v9, 8, v7
	v_cmp_ne_u32_e32 vcc_lo, 0, v2
	v_bfe_u32 v10, v7, 20, 11
	v_lshrrev_b32_e32 v5, 16, v5
	v_sub_nc_u32_e32 v11, 0x3f1, v8
	v_add_nc_u32_e32 v8, 0xfffffc10, v8
	v_cndmask_b32_e64 v2, 0, 1, vcc_lo
	v_cmp_ne_u32_e32 vcc_lo, 0, v6
	v_lshrrev_b32_e32 v7, 16, v7
	s_delay_alu instid0(VALU_DEP_3) | instskip(SKIP_3) | instid1(VALU_DEP_3)
	v_and_or_b32 v2, 0xffe, v4, v2
	v_cndmask_b32_e64 v6, 0, 1, vcc_lo
	v_sub_nc_u32_e32 v4, 0x3f1, v10
	v_add_nc_u32_e32 v10, 0xfffffc10, v10
	v_and_or_b32 v6, 0xffe, v9, v6
	v_med3_i32 v9, v11, 0, 13
	v_or_b32_e32 v11, 0x1000, v2
	v_med3_i32 v4, v4, 0, 13
	s_delay_alu instid0(VALU_DEP_4) | instskip(NEXT) | instid1(VALU_DEP_3)
	v_or_b32_e32 v12, 0x1000, v6
	v_lshrrev_b32_e32 v15, v9, v11
	s_delay_alu instid0(VALU_DEP_2) | instskip(NEXT) | instid1(VALU_DEP_2)
	v_lshrrev_b32_e32 v21, v4, v12
	v_lshlrev_b32_e32 v9, v9, v15
	s_delay_alu instid0(VALU_DEP_2) | instskip(NEXT) | instid1(VALU_DEP_2)
	v_lshlrev_b32_e32 v4, v4, v21
	v_cmp_ne_u32_e32 vcc_lo, v9, v11
	v_lshl_or_b32 v11, v8, 12, v2
	v_cndmask_b32_e64 v9, 0, 1, vcc_lo
	s_delay_alu instid0(VALU_DEP_4) | instskip(SKIP_1) | instid1(VALU_DEP_3)
	v_cmp_ne_u32_e32 vcc_lo, v4, v12
	v_lshl_or_b32 v12, v10, 12, v6
	v_or_b32_e32 v9, v15, v9
	v_cndmask_b32_e64 v4, 0, 1, vcc_lo
	v_cmp_gt_i32_e32 vcc_lo, 1, v8
	s_delay_alu instid0(VALU_DEP_2) | instskip(NEXT) | instid1(VALU_DEP_4)
	v_or_b32_e32 v4, v21, v4
	v_cndmask_b32_e32 v9, v11, v9, vcc_lo
	v_cmp_gt_i32_e32 vcc_lo, 1, v10
	s_delay_alu instid0(VALU_DEP_2) | instskip(SKIP_2) | instid1(VALU_DEP_3)
	v_dual_cndmask_b32 v4, v12, v4 :: v_dual_and_b32 v11, 7, v9
	v_cmp_ne_u32_e32 vcc_lo, 0, v2
	v_lshrrev_b32_e32 v9, 2, v9
	v_cmp_eq_u32_e64 s0, 3, v11
	s_delay_alu instid0(VALU_DEP_4) | instskip(SKIP_3) | instid1(VALU_DEP_4)
	v_and_b32_e32 v12, 7, v4
	v_cndmask_b32_e64 v2, 0, 1, vcc_lo
	v_cmp_ne_u32_e32 vcc_lo, 0, v6
	v_lshrrev_b32_e32 v4, 2, v4
	v_cmp_lt_i32_e64 s1, 5, v12
	v_cmp_eq_u32_e64 s2, 3, v12
	v_cndmask_b32_e64 v6, 0, 1, vcc_lo
	v_cmp_lt_i32_e32 vcc_lo, 5, v11
	v_lshl_or_b32 v2, v2, 9, 0x7c00
	s_delay_alu instid0(VALU_DEP_3)
	v_lshl_or_b32 v6, v6, 9, 0x7c00
	s_or_b32 vcc_lo, s0, vcc_lo
	v_add_co_ci_u32_e32 v9, vcc_lo, 0, v9, vcc_lo
	s_or_b32 vcc_lo, s2, s1
	v_add_co_ci_u32_e32 v4, vcc_lo, 0, v4, vcc_lo
	v_cmp_gt_i32_e32 vcc_lo, 31, v8
	s_delay_alu instid0(VALU_DEP_3) | instskip(SKIP_1) | instid1(VALU_DEP_4)
	v_cndmask_b32_e32 v9, 0x7c00, v9, vcc_lo
	v_cmp_gt_i32_e32 vcc_lo, 31, v10
	v_cndmask_b32_e32 v4, 0x7c00, v4, vcc_lo
	v_cmp_eq_u32_e32 vcc_lo, 0x40f, v8
	s_delay_alu instid0(VALU_DEP_4) | instskip(SKIP_1) | instid1(VALU_DEP_2)
	v_cndmask_b32_e32 v2, v9, v2, vcc_lo
	v_cmp_eq_u32_e32 vcc_lo, 0x40f, v10
	v_and_or_b32 v2, 0x8000, v5, v2
	v_cndmask_b32_e32 v4, v4, v6, vcc_lo
	v_add_co_u32 v0, vcc_lo, v0, s14
	v_add_co_ci_u32_e32 v1, vcc_lo, s15, v1, vcc_lo
	s_delay_alu instid0(VALU_DEP_3) | instskip(SKIP_1) | instid1(VALU_DEP_1)
	v_and_or_b32 v4, 0x8000, v7, v4
	v_and_b32_e32 v2, 0xffff, v2
	v_lshl_or_b32 v2, v4, 16, v2
	v_lshrrev_b32_e32 v4, 16, v3
	global_store_b32 v[0:1], v2, off
	global_load_b32 v2, v[18:19], off offset:2976
	s_waitcnt vmcnt(0)
	v_lshrrev_b32_e32 v5, 16, v2
	s_delay_alu instid0(VALU_DEP_1) | instskip(SKIP_1) | instid1(VALU_DEP_2)
	v_mul_f16_e32 v6, v4, v5
	v_mul_f16_e32 v5, v3, v5
	v_fmac_f16_e32 v6, v3, v2
	s_delay_alu instid0(VALU_DEP_2) | instskip(NEXT) | instid1(VALU_DEP_2)
	v_fma_f16 v2, v2, v4, -v5
	v_cvt_f32_f16_e32 v3, v6
	s_delay_alu instid0(VALU_DEP_2) | instskip(NEXT) | instid1(VALU_DEP_2)
	v_cvt_f32_f16_e32 v4, v2
	v_cvt_f64_f32_e32 v[2:3], v3
	s_delay_alu instid0(VALU_DEP_2) | instskip(NEXT) | instid1(VALU_DEP_2)
	v_cvt_f64_f32_e32 v[4:5], v4
	v_mul_f64 v[2:3], v[2:3], s[10:11]
	s_delay_alu instid0(VALU_DEP_2) | instskip(NEXT) | instid1(VALU_DEP_2)
	v_mul_f64 v[4:5], v[4:5], s[10:11]
	v_and_or_b32 v2, 0x1ff, v3, v2
	s_delay_alu instid0(VALU_DEP_2)
	v_and_or_b32 v4, 0x1ff, v5, v4
	v_lshrrev_b32_e32 v6, 8, v3
	v_bfe_u32 v7, v3, 20, 11
	v_lshrrev_b32_e32 v8, 8, v5
	v_cmp_ne_u32_e32 vcc_lo, 0, v2
	v_bfe_u32 v9, v5, 20, 11
	v_lshrrev_b32_e32 v3, 16, v3
	v_sub_nc_u32_e32 v10, 0x3f1, v7
	v_add_nc_u32_e32 v7, 0xfffffc10, v7
	v_cndmask_b32_e64 v2, 0, 1, vcc_lo
	v_cmp_ne_u32_e32 vcc_lo, 0, v4
	v_lshrrev_b32_e32 v5, 16, v5
	s_delay_alu instid0(VALU_DEP_3) | instskip(SKIP_3) | instid1(VALU_DEP_3)
	v_and_or_b32 v2, 0xffe, v6, v2
	v_cndmask_b32_e64 v4, 0, 1, vcc_lo
	v_sub_nc_u32_e32 v6, 0x3f1, v9
	v_add_nc_u32_e32 v9, 0xfffffc10, v9
	v_and_or_b32 v4, 0xffe, v8, v4
	v_med3_i32 v8, v10, 0, 13
	v_or_b32_e32 v10, 0x1000, v2
	v_med3_i32 v6, v6, 0, 13
	s_delay_alu instid0(VALU_DEP_4) | instskip(NEXT) | instid1(VALU_DEP_3)
	v_or_b32_e32 v11, 0x1000, v4
	v_lshrrev_b32_e32 v12, v8, v10
	s_delay_alu instid0(VALU_DEP_2) | instskip(NEXT) | instid1(VALU_DEP_2)
	v_lshrrev_b32_e32 v15, v6, v11
	v_lshlrev_b32_e32 v8, v8, v12
	s_delay_alu instid0(VALU_DEP_2) | instskip(NEXT) | instid1(VALU_DEP_2)
	v_lshlrev_b32_e32 v6, v6, v15
	v_cmp_ne_u32_e32 vcc_lo, v8, v10
	v_lshl_or_b32 v10, v7, 12, v2
	v_cndmask_b32_e64 v8, 0, 1, vcc_lo
	s_delay_alu instid0(VALU_DEP_4) | instskip(SKIP_1) | instid1(VALU_DEP_3)
	v_cmp_ne_u32_e32 vcc_lo, v6, v11
	v_lshl_or_b32 v11, v9, 12, v4
	v_or_b32_e32 v8, v12, v8
	v_cndmask_b32_e64 v6, 0, 1, vcc_lo
	v_cmp_gt_i32_e32 vcc_lo, 1, v7
	s_delay_alu instid0(VALU_DEP_2) | instskip(NEXT) | instid1(VALU_DEP_4)
	v_or_b32_e32 v6, v15, v6
	v_cndmask_b32_e32 v8, v10, v8, vcc_lo
	v_cmp_gt_i32_e32 vcc_lo, 1, v9
	s_delay_alu instid0(VALU_DEP_2) | instskip(NEXT) | instid1(VALU_DEP_4)
	v_and_b32_e32 v10, 7, v8
	v_cndmask_b32_e32 v6, v11, v6, vcc_lo
	v_cmp_ne_u32_e32 vcc_lo, 0, v2
	v_lshrrev_b32_e32 v8, 2, v8
	s_delay_alu instid0(VALU_DEP_4) | instskip(NEXT) | instid1(VALU_DEP_4)
	v_cmp_eq_u32_e64 s0, 3, v10
	v_and_b32_e32 v11, 7, v6
	v_cndmask_b32_e64 v2, 0, 1, vcc_lo
	v_cmp_ne_u32_e32 vcc_lo, 0, v4
	v_lshrrev_b32_e32 v6, 2, v6
	s_delay_alu instid0(VALU_DEP_4) | instskip(SKIP_4) | instid1(VALU_DEP_3)
	v_cmp_lt_i32_e64 s1, 5, v11
	v_cmp_eq_u32_e64 s2, 3, v11
	v_cndmask_b32_e64 v4, 0, 1, vcc_lo
	v_cmp_lt_i32_e32 vcc_lo, 5, v10
	v_lshl_or_b32 v2, v2, 9, 0x7c00
	v_lshl_or_b32 v4, v4, 9, 0x7c00
	s_or_b32 vcc_lo, s0, vcc_lo
	v_add_co_ci_u32_e32 v8, vcc_lo, 0, v8, vcc_lo
	s_or_b32 vcc_lo, s2, s1
	v_add_co_ci_u32_e32 v6, vcc_lo, 0, v6, vcc_lo
	v_cmp_gt_i32_e32 vcc_lo, 31, v7
	s_delay_alu instid0(VALU_DEP_3) | instskip(SKIP_1) | instid1(VALU_DEP_4)
	v_cndmask_b32_e32 v8, 0x7c00, v8, vcc_lo
	v_cmp_gt_i32_e32 vcc_lo, 31, v9
	v_cndmask_b32_e32 v6, 0x7c00, v6, vcc_lo
	v_cmp_eq_u32_e32 vcc_lo, 0x40f, v7
	s_delay_alu instid0(VALU_DEP_4) | instskip(SKIP_1) | instid1(VALU_DEP_2)
	v_cndmask_b32_e32 v2, v8, v2, vcc_lo
	v_cmp_eq_u32_e32 vcc_lo, 0x40f, v9
	v_and_or_b32 v2, 0x8000, v3, v2
	v_cndmask_b32_e32 v4, v6, v4, vcc_lo
	v_add_co_u32 v0, vcc_lo, v0, s14
	v_add_co_ci_u32_e32 v1, vcc_lo, s15, v1, vcc_lo
	s_delay_alu instid0(VALU_DEP_3) | instskip(SKIP_1) | instid1(VALU_DEP_1)
	v_and_or_b32 v3, 0x8000, v5, v4
	v_and_b32_e32 v2, 0xffff, v2
	v_lshl_or_b32 v2, v3, 16, v2
	global_store_b32 v[0:1], v2, off
	global_load_b32 v4, v[18:19], off offset:3372
	ds_load_2addr_b32 v[2:3], v40 offset0:75 offset1:174
	s_waitcnt lgkmcnt(0)
	v_lshrrev_b32_e32 v5, 16, v2
	s_waitcnt vmcnt(0)
	v_lshrrev_b32_e32 v6, 16, v4
	s_delay_alu instid0(VALU_DEP_1) | instskip(SKIP_1) | instid1(VALU_DEP_2)
	v_mul_f16_e32 v7, v5, v6
	v_mul_f16_e32 v6, v2, v6
	v_fmac_f16_e32 v7, v2, v4
	s_delay_alu instid0(VALU_DEP_2) | instskip(NEXT) | instid1(VALU_DEP_2)
	v_fma_f16 v2, v4, v5, -v6
	v_cvt_f32_f16_e32 v4, v7
	s_delay_alu instid0(VALU_DEP_2) | instskip(NEXT) | instid1(VALU_DEP_2)
	v_cvt_f32_f16_e32 v2, v2
	v_cvt_f64_f32_e32 v[4:5], v4
	s_delay_alu instid0(VALU_DEP_2) | instskip(NEXT) | instid1(VALU_DEP_2)
	v_cvt_f64_f32_e32 v[6:7], v2
	v_mul_f64 v[4:5], v[4:5], s[10:11]
	s_delay_alu instid0(VALU_DEP_2) | instskip(NEXT) | instid1(VALU_DEP_2)
	v_mul_f64 v[6:7], v[6:7], s[10:11]
	v_and_or_b32 v2, 0x1ff, v5, v4
	s_delay_alu instid0(VALU_DEP_2)
	v_and_or_b32 v6, 0x1ff, v7, v6
	v_lshrrev_b32_e32 v4, 8, v5
	v_bfe_u32 v8, v5, 20, 11
	v_lshrrev_b32_e32 v9, 8, v7
	v_cmp_ne_u32_e32 vcc_lo, 0, v2
	v_bfe_u32 v10, v7, 20, 11
	v_lshrrev_b32_e32 v5, 16, v5
	v_sub_nc_u32_e32 v11, 0x3f1, v8
	v_add_nc_u32_e32 v8, 0xfffffc10, v8
	v_cndmask_b32_e64 v2, 0, 1, vcc_lo
	v_cmp_ne_u32_e32 vcc_lo, 0, v6
	v_lshrrev_b32_e32 v7, 16, v7
	s_delay_alu instid0(VALU_DEP_3) | instskip(SKIP_3) | instid1(VALU_DEP_3)
	v_and_or_b32 v2, 0xffe, v4, v2
	v_cndmask_b32_e64 v6, 0, 1, vcc_lo
	v_sub_nc_u32_e32 v4, 0x3f1, v10
	v_add_nc_u32_e32 v10, 0xfffffc10, v10
	v_and_or_b32 v6, 0xffe, v9, v6
	v_med3_i32 v9, v11, 0, 13
	v_or_b32_e32 v11, 0x1000, v2
	v_med3_i32 v4, v4, 0, 13
	s_delay_alu instid0(VALU_DEP_4) | instskip(NEXT) | instid1(VALU_DEP_3)
	v_or_b32_e32 v12, 0x1000, v6
	v_lshrrev_b32_e32 v15, v9, v11
	s_delay_alu instid0(VALU_DEP_2) | instskip(NEXT) | instid1(VALU_DEP_2)
	v_lshrrev_b32_e32 v21, v4, v12
	v_lshlrev_b32_e32 v9, v9, v15
	s_delay_alu instid0(VALU_DEP_2) | instskip(NEXT) | instid1(VALU_DEP_2)
	v_lshlrev_b32_e32 v4, v4, v21
	v_cmp_ne_u32_e32 vcc_lo, v9, v11
	v_lshl_or_b32 v11, v8, 12, v2
	v_cndmask_b32_e64 v9, 0, 1, vcc_lo
	s_delay_alu instid0(VALU_DEP_4) | instskip(SKIP_1) | instid1(VALU_DEP_3)
	v_cmp_ne_u32_e32 vcc_lo, v4, v12
	v_lshl_or_b32 v12, v10, 12, v6
	v_or_b32_e32 v9, v15, v9
	v_cndmask_b32_e64 v4, 0, 1, vcc_lo
	v_cmp_gt_i32_e32 vcc_lo, 1, v8
	s_delay_alu instid0(VALU_DEP_2) | instskip(NEXT) | instid1(VALU_DEP_4)
	v_or_b32_e32 v4, v21, v4
	v_cndmask_b32_e32 v9, v11, v9, vcc_lo
	v_cmp_gt_i32_e32 vcc_lo, 1, v10
	scratch_load_b32 v21, off, off offset:108 ; 4-byte Folded Reload
	v_dual_cndmask_b32 v4, v12, v4 :: v_dual_and_b32 v11, 7, v9
	v_cmp_ne_u32_e32 vcc_lo, 0, v2
	v_lshrrev_b32_e32 v9, 2, v9
	s_delay_alu instid0(VALU_DEP_3) | instskip(NEXT) | instid1(VALU_DEP_4)
	v_cmp_eq_u32_e64 s0, 3, v11
	v_and_b32_e32 v12, 7, v4
	v_cndmask_b32_e64 v2, 0, 1, vcc_lo
	v_cmp_ne_u32_e32 vcc_lo, 0, v6
	v_lshrrev_b32_e32 v4, 2, v4
	s_delay_alu instid0(VALU_DEP_4) | instskip(SKIP_4) | instid1(VALU_DEP_3)
	v_cmp_lt_i32_e64 s1, 5, v12
	v_cmp_eq_u32_e64 s2, 3, v12
	v_cndmask_b32_e64 v6, 0, 1, vcc_lo
	v_cmp_lt_i32_e32 vcc_lo, 5, v11
	v_lshl_or_b32 v2, v2, 9, 0x7c00
	v_lshl_or_b32 v6, v6, 9, 0x7c00
	s_or_b32 vcc_lo, s0, vcc_lo
	v_add_co_ci_u32_e32 v9, vcc_lo, 0, v9, vcc_lo
	s_or_b32 vcc_lo, s2, s1
	v_add_co_ci_u32_e32 v4, vcc_lo, 0, v4, vcc_lo
	v_cmp_gt_i32_e32 vcc_lo, 31, v8
	s_delay_alu instid0(VALU_DEP_3) | instskip(SKIP_1) | instid1(VALU_DEP_4)
	v_cndmask_b32_e32 v9, 0x7c00, v9, vcc_lo
	v_cmp_gt_i32_e32 vcc_lo, 31, v10
	v_cndmask_b32_e32 v4, 0x7c00, v4, vcc_lo
	v_cmp_eq_u32_e32 vcc_lo, 0x40f, v8
	s_delay_alu instid0(VALU_DEP_4) | instskip(SKIP_1) | instid1(VALU_DEP_2)
	v_cndmask_b32_e32 v2, v9, v2, vcc_lo
	v_cmp_eq_u32_e32 vcc_lo, 0x40f, v10
	v_and_or_b32 v2, 0x8000, v5, v2
	v_cndmask_b32_e32 v4, v4, v6, vcc_lo
	v_add_co_u32 v0, vcc_lo, v0, s14
	v_add_co_ci_u32_e32 v1, vcc_lo, s15, v1, vcc_lo
	s_delay_alu instid0(VALU_DEP_3) | instskip(SKIP_1) | instid1(VALU_DEP_1)
	v_and_or_b32 v4, 0x8000, v7, v4
	v_and_b32_e32 v2, 0xffff, v2
	v_lshl_or_b32 v2, v4, 16, v2
	v_lshrrev_b32_e32 v4, 16, v3
	global_store_b32 v[0:1], v2, off
	global_load_b32 v2, v[18:19], off offset:3768
	s_waitcnt vmcnt(0)
	v_lshrrev_b32_e32 v5, 16, v2
	s_delay_alu instid0(VALU_DEP_1) | instskip(SKIP_1) | instid1(VALU_DEP_2)
	v_mul_f16_e32 v6, v4, v5
	v_mul_f16_e32 v5, v3, v5
	v_fmac_f16_e32 v6, v3, v2
	s_delay_alu instid0(VALU_DEP_2) | instskip(NEXT) | instid1(VALU_DEP_2)
	v_fma_f16 v2, v2, v4, -v5
	v_cvt_f32_f16_e32 v3, v6
	s_delay_alu instid0(VALU_DEP_2) | instskip(NEXT) | instid1(VALU_DEP_2)
	v_cvt_f32_f16_e32 v4, v2
	v_cvt_f64_f32_e32 v[2:3], v3
	s_delay_alu instid0(VALU_DEP_2) | instskip(NEXT) | instid1(VALU_DEP_2)
	v_cvt_f64_f32_e32 v[4:5], v4
	v_mul_f64 v[2:3], v[2:3], s[10:11]
	s_delay_alu instid0(VALU_DEP_2) | instskip(NEXT) | instid1(VALU_DEP_2)
	v_mul_f64 v[4:5], v[4:5], s[10:11]
	v_and_or_b32 v2, 0x1ff, v3, v2
	s_delay_alu instid0(VALU_DEP_2)
	v_and_or_b32 v4, 0x1ff, v5, v4
	v_lshrrev_b32_e32 v6, 8, v3
	v_bfe_u32 v7, v3, 20, 11
	v_lshrrev_b32_e32 v8, 8, v5
	v_cmp_ne_u32_e32 vcc_lo, 0, v2
	v_bfe_u32 v9, v5, 20, 11
	v_lshrrev_b32_e32 v3, 16, v3
	v_sub_nc_u32_e32 v10, 0x3f1, v7
	v_add_nc_u32_e32 v7, 0xfffffc10, v7
	v_cndmask_b32_e64 v2, 0, 1, vcc_lo
	v_cmp_ne_u32_e32 vcc_lo, 0, v4
	v_lshrrev_b32_e32 v5, 16, v5
	s_delay_alu instid0(VALU_DEP_3) | instskip(SKIP_3) | instid1(VALU_DEP_3)
	v_and_or_b32 v2, 0xffe, v6, v2
	v_cndmask_b32_e64 v4, 0, 1, vcc_lo
	v_sub_nc_u32_e32 v6, 0x3f1, v9
	v_add_nc_u32_e32 v9, 0xfffffc10, v9
	v_and_or_b32 v4, 0xffe, v8, v4
	v_med3_i32 v8, v10, 0, 13
	v_or_b32_e32 v10, 0x1000, v2
	v_med3_i32 v6, v6, 0, 13
	s_delay_alu instid0(VALU_DEP_4) | instskip(NEXT) | instid1(VALU_DEP_3)
	v_or_b32_e32 v11, 0x1000, v4
	v_lshrrev_b32_e32 v12, v8, v10
	s_delay_alu instid0(VALU_DEP_2) | instskip(NEXT) | instid1(VALU_DEP_2)
	v_lshrrev_b32_e32 v15, v6, v11
	v_lshlrev_b32_e32 v8, v8, v12
	s_delay_alu instid0(VALU_DEP_2) | instskip(NEXT) | instid1(VALU_DEP_2)
	v_lshlrev_b32_e32 v6, v6, v15
	v_cmp_ne_u32_e32 vcc_lo, v8, v10
	v_lshl_or_b32 v10, v7, 12, v2
	v_cndmask_b32_e64 v8, 0, 1, vcc_lo
	s_delay_alu instid0(VALU_DEP_4) | instskip(SKIP_1) | instid1(VALU_DEP_3)
	v_cmp_ne_u32_e32 vcc_lo, v6, v11
	v_lshl_or_b32 v11, v9, 12, v4
	v_or_b32_e32 v8, v12, v8
	v_cndmask_b32_e64 v6, 0, 1, vcc_lo
	v_cmp_gt_i32_e32 vcc_lo, 1, v7
	s_delay_alu instid0(VALU_DEP_2) | instskip(NEXT) | instid1(VALU_DEP_4)
	v_or_b32_e32 v6, v15, v6
	v_cndmask_b32_e32 v8, v10, v8, vcc_lo
	v_cmp_gt_i32_e32 vcc_lo, 1, v9
	s_delay_alu instid0(VALU_DEP_2) | instskip(NEXT) | instid1(VALU_DEP_4)
	v_and_b32_e32 v10, 7, v8
	v_cndmask_b32_e32 v6, v11, v6, vcc_lo
	v_cmp_ne_u32_e32 vcc_lo, 0, v2
	v_lshrrev_b32_e32 v8, 2, v8
	s_delay_alu instid0(VALU_DEP_4) | instskip(NEXT) | instid1(VALU_DEP_4)
	v_cmp_eq_u32_e64 s0, 3, v10
	v_and_b32_e32 v11, 7, v6
	v_cndmask_b32_e64 v2, 0, 1, vcc_lo
	v_cmp_ne_u32_e32 vcc_lo, 0, v4
	v_lshrrev_b32_e32 v6, 2, v6
	s_delay_alu instid0(VALU_DEP_4) | instskip(SKIP_4) | instid1(VALU_DEP_3)
	v_cmp_lt_i32_e64 s1, 5, v11
	v_cmp_eq_u32_e64 s2, 3, v11
	v_cndmask_b32_e64 v4, 0, 1, vcc_lo
	v_cmp_lt_i32_e32 vcc_lo, 5, v10
	v_lshl_or_b32 v2, v2, 9, 0x7c00
	v_lshl_or_b32 v4, v4, 9, 0x7c00
	s_or_b32 vcc_lo, s0, vcc_lo
	v_add_co_ci_u32_e32 v8, vcc_lo, 0, v8, vcc_lo
	s_or_b32 vcc_lo, s2, s1
	v_add_co_ci_u32_e32 v6, vcc_lo, 0, v6, vcc_lo
	v_cmp_gt_i32_e32 vcc_lo, 31, v7
	s_delay_alu instid0(VALU_DEP_3) | instskip(SKIP_1) | instid1(VALU_DEP_4)
	v_cndmask_b32_e32 v8, 0x7c00, v8, vcc_lo
	v_cmp_gt_i32_e32 vcc_lo, 31, v9
	v_cndmask_b32_e32 v6, 0x7c00, v6, vcc_lo
	v_cmp_eq_u32_e32 vcc_lo, 0x40f, v7
	s_delay_alu instid0(VALU_DEP_4) | instskip(SKIP_1) | instid1(VALU_DEP_2)
	v_cndmask_b32_e32 v2, v8, v2, vcc_lo
	v_cmp_eq_u32_e32 vcc_lo, 0x40f, v9
	v_and_or_b32 v2, 0x8000, v3, v2
	v_cndmask_b32_e32 v4, v6, v4, vcc_lo
	v_add_co_u32 v0, vcc_lo, v0, s14
	v_add_co_ci_u32_e32 v1, vcc_lo, s15, v1, vcc_lo
	s_delay_alu instid0(VALU_DEP_3) | instskip(SKIP_1) | instid1(VALU_DEP_1)
	v_and_or_b32 v3, 0x8000, v5, v4
	v_and_b32_e32 v2, 0xffff, v2
	v_lshl_or_b32 v2, v3, 16, v2
	global_store_b32 v[0:1], v2, off
	global_load_b32 v4, v[16:17], off offset:68
	ds_load_2addr_b32 v[2:3], v27 offset0:17 offset1:116
	s_waitcnt lgkmcnt(0)
	v_lshrrev_b32_e32 v5, 16, v2
	s_waitcnt vmcnt(0)
	v_lshrrev_b32_e32 v6, 16, v4
	s_delay_alu instid0(VALU_DEP_1) | instskip(SKIP_1) | instid1(VALU_DEP_2)
	v_mul_f16_e32 v7, v5, v6
	v_mul_f16_e32 v6, v2, v6
	v_fmac_f16_e32 v7, v2, v4
	s_delay_alu instid0(VALU_DEP_2) | instskip(NEXT) | instid1(VALU_DEP_2)
	v_fma_f16 v2, v4, v5, -v6
	v_cvt_f32_f16_e32 v4, v7
	s_delay_alu instid0(VALU_DEP_2) | instskip(NEXT) | instid1(VALU_DEP_2)
	v_cvt_f32_f16_e32 v2, v2
	v_cvt_f64_f32_e32 v[4:5], v4
	s_delay_alu instid0(VALU_DEP_2) | instskip(NEXT) | instid1(VALU_DEP_2)
	v_cvt_f64_f32_e32 v[6:7], v2
	v_mul_f64 v[4:5], v[4:5], s[10:11]
	s_delay_alu instid0(VALU_DEP_2) | instskip(NEXT) | instid1(VALU_DEP_2)
	v_mul_f64 v[6:7], v[6:7], s[10:11]
	v_and_or_b32 v2, 0x1ff, v5, v4
	s_delay_alu instid0(VALU_DEP_2)
	v_and_or_b32 v6, 0x1ff, v7, v6
	v_lshrrev_b32_e32 v4, 8, v5
	v_bfe_u32 v8, v5, 20, 11
	v_lshrrev_b32_e32 v9, 8, v7
	v_cmp_ne_u32_e32 vcc_lo, 0, v2
	v_bfe_u32 v10, v7, 20, 11
	v_lshrrev_b32_e32 v5, 16, v5
	v_sub_nc_u32_e32 v11, 0x3f1, v8
	v_add_nc_u32_e32 v8, 0xfffffc10, v8
	v_cndmask_b32_e64 v2, 0, 1, vcc_lo
	v_cmp_ne_u32_e32 vcc_lo, 0, v6
	v_lshrrev_b32_e32 v7, 16, v7
	s_delay_alu instid0(VALU_DEP_3) | instskip(SKIP_3) | instid1(VALU_DEP_3)
	v_and_or_b32 v2, 0xffe, v4, v2
	v_cndmask_b32_e64 v6, 0, 1, vcc_lo
	v_sub_nc_u32_e32 v4, 0x3f1, v10
	v_add_nc_u32_e32 v10, 0xfffffc10, v10
	v_and_or_b32 v6, 0xffe, v9, v6
	v_med3_i32 v9, v11, 0, 13
	v_or_b32_e32 v11, 0x1000, v2
	v_med3_i32 v4, v4, 0, 13
	s_delay_alu instid0(VALU_DEP_4) | instskip(NEXT) | instid1(VALU_DEP_3)
	v_or_b32_e32 v12, 0x1000, v6
	v_lshrrev_b32_e32 v15, v9, v11
	s_delay_alu instid0(VALU_DEP_2) | instskip(NEXT) | instid1(VALU_DEP_2)
	v_lshrrev_b32_e32 v18, v4, v12
	v_lshlrev_b32_e32 v9, v9, v15
	s_delay_alu instid0(VALU_DEP_2) | instskip(NEXT) | instid1(VALU_DEP_2)
	v_lshlrev_b32_e32 v4, v4, v18
	v_cmp_ne_u32_e32 vcc_lo, v9, v11
	v_lshl_or_b32 v11, v8, 12, v2
	v_cndmask_b32_e64 v9, 0, 1, vcc_lo
	s_delay_alu instid0(VALU_DEP_4) | instskip(SKIP_1) | instid1(VALU_DEP_3)
	v_cmp_ne_u32_e32 vcc_lo, v4, v12
	v_lshl_or_b32 v12, v10, 12, v6
	v_or_b32_e32 v9, v15, v9
	v_cndmask_b32_e64 v4, 0, 1, vcc_lo
	v_cmp_gt_i32_e32 vcc_lo, 1, v8
	s_delay_alu instid0(VALU_DEP_2) | instskip(NEXT) | instid1(VALU_DEP_4)
	v_or_b32_e32 v4, v18, v4
	v_cndmask_b32_e32 v9, v11, v9, vcc_lo
	v_cmp_gt_i32_e32 vcc_lo, 1, v10
	s_delay_alu instid0(VALU_DEP_2) | instskip(SKIP_2) | instid1(VALU_DEP_3)
	v_dual_cndmask_b32 v4, v12, v4 :: v_dual_and_b32 v11, 7, v9
	v_cmp_ne_u32_e32 vcc_lo, 0, v2
	v_lshrrev_b32_e32 v9, 2, v9
	v_cmp_eq_u32_e64 s0, 3, v11
	s_delay_alu instid0(VALU_DEP_4) | instskip(SKIP_3) | instid1(VALU_DEP_4)
	v_and_b32_e32 v12, 7, v4
	v_cndmask_b32_e64 v2, 0, 1, vcc_lo
	v_cmp_ne_u32_e32 vcc_lo, 0, v6
	v_lshrrev_b32_e32 v4, 2, v4
	v_cmp_lt_i32_e64 s1, 5, v12
	v_cmp_eq_u32_e64 s2, 3, v12
	v_cndmask_b32_e64 v6, 0, 1, vcc_lo
	v_cmp_lt_i32_e32 vcc_lo, 5, v11
	v_lshl_or_b32 v2, v2, 9, 0x7c00
	s_delay_alu instid0(VALU_DEP_3)
	v_lshl_or_b32 v6, v6, 9, 0x7c00
	s_or_b32 vcc_lo, s0, vcc_lo
	v_add_co_ci_u32_e32 v9, vcc_lo, 0, v9, vcc_lo
	s_or_b32 vcc_lo, s2, s1
	v_add_co_ci_u32_e32 v4, vcc_lo, 0, v4, vcc_lo
	v_cmp_gt_i32_e32 vcc_lo, 31, v8
	s_delay_alu instid0(VALU_DEP_3) | instskip(SKIP_1) | instid1(VALU_DEP_4)
	v_cndmask_b32_e32 v9, 0x7c00, v9, vcc_lo
	v_cmp_gt_i32_e32 vcc_lo, 31, v10
	v_cndmask_b32_e32 v4, 0x7c00, v4, vcc_lo
	v_cmp_eq_u32_e32 vcc_lo, 0x40f, v8
	s_delay_alu instid0(VALU_DEP_4) | instskip(SKIP_1) | instid1(VALU_DEP_2)
	v_cndmask_b32_e32 v2, v9, v2, vcc_lo
	v_cmp_eq_u32_e32 vcc_lo, 0x40f, v10
	v_and_or_b32 v2, 0x8000, v5, v2
	v_cndmask_b32_e32 v4, v4, v6, vcc_lo
	v_add_co_u32 v0, vcc_lo, v0, s14
	v_add_co_ci_u32_e32 v1, vcc_lo, s15, v1, vcc_lo
	s_delay_alu instid0(VALU_DEP_3) | instskip(SKIP_1) | instid1(VALU_DEP_1)
	v_and_or_b32 v4, 0x8000, v7, v4
	v_and_b32_e32 v2, 0xffff, v2
	v_lshl_or_b32 v2, v4, 16, v2
	v_lshrrev_b32_e32 v4, 16, v3
	global_store_b32 v[0:1], v2, off
	global_load_b32 v2, v[16:17], off offset:464
	s_waitcnt vmcnt(0)
	v_lshrrev_b32_e32 v5, 16, v2
	s_delay_alu instid0(VALU_DEP_1) | instskip(SKIP_1) | instid1(VALU_DEP_2)
	v_mul_f16_e32 v6, v4, v5
	v_mul_f16_e32 v5, v3, v5
	v_fmac_f16_e32 v6, v3, v2
	s_delay_alu instid0(VALU_DEP_2) | instskip(NEXT) | instid1(VALU_DEP_2)
	v_fma_f16 v2, v2, v4, -v5
	v_cvt_f32_f16_e32 v3, v6
	s_delay_alu instid0(VALU_DEP_2) | instskip(NEXT) | instid1(VALU_DEP_2)
	v_cvt_f32_f16_e32 v4, v2
	v_cvt_f64_f32_e32 v[2:3], v3
	s_delay_alu instid0(VALU_DEP_2) | instskip(NEXT) | instid1(VALU_DEP_2)
	v_cvt_f64_f32_e32 v[4:5], v4
	v_mul_f64 v[2:3], v[2:3], s[10:11]
	s_delay_alu instid0(VALU_DEP_2) | instskip(NEXT) | instid1(VALU_DEP_2)
	v_mul_f64 v[4:5], v[4:5], s[10:11]
	v_and_or_b32 v2, 0x1ff, v3, v2
	s_delay_alu instid0(VALU_DEP_2)
	v_and_or_b32 v4, 0x1ff, v5, v4
	v_lshrrev_b32_e32 v6, 8, v3
	v_bfe_u32 v7, v3, 20, 11
	v_lshrrev_b32_e32 v8, 8, v5
	v_cmp_ne_u32_e32 vcc_lo, 0, v2
	v_bfe_u32 v9, v5, 20, 11
	v_lshrrev_b32_e32 v3, 16, v3
	v_sub_nc_u32_e32 v10, 0x3f1, v7
	v_add_nc_u32_e32 v7, 0xfffffc10, v7
	v_cndmask_b32_e64 v2, 0, 1, vcc_lo
	v_cmp_ne_u32_e32 vcc_lo, 0, v4
	v_lshrrev_b32_e32 v5, 16, v5
	s_delay_alu instid0(VALU_DEP_3) | instskip(SKIP_3) | instid1(VALU_DEP_3)
	v_and_or_b32 v2, 0xffe, v6, v2
	v_cndmask_b32_e64 v4, 0, 1, vcc_lo
	v_sub_nc_u32_e32 v6, 0x3f1, v9
	v_add_nc_u32_e32 v9, 0xfffffc10, v9
	v_and_or_b32 v4, 0xffe, v8, v4
	v_med3_i32 v8, v10, 0, 13
	v_or_b32_e32 v10, 0x1000, v2
	v_med3_i32 v6, v6, 0, 13
	s_delay_alu instid0(VALU_DEP_4) | instskip(NEXT) | instid1(VALU_DEP_3)
	v_or_b32_e32 v11, 0x1000, v4
	v_lshrrev_b32_e32 v12, v8, v10
	s_delay_alu instid0(VALU_DEP_2) | instskip(NEXT) | instid1(VALU_DEP_2)
	v_lshrrev_b32_e32 v15, v6, v11
	v_lshlrev_b32_e32 v8, v8, v12
	s_delay_alu instid0(VALU_DEP_2) | instskip(NEXT) | instid1(VALU_DEP_2)
	v_lshlrev_b32_e32 v6, v6, v15
	v_cmp_ne_u32_e32 vcc_lo, v8, v10
	v_lshl_or_b32 v10, v7, 12, v2
	v_cndmask_b32_e64 v8, 0, 1, vcc_lo
	s_delay_alu instid0(VALU_DEP_4) | instskip(SKIP_1) | instid1(VALU_DEP_3)
	v_cmp_ne_u32_e32 vcc_lo, v6, v11
	v_lshl_or_b32 v11, v9, 12, v4
	v_or_b32_e32 v8, v12, v8
	v_cndmask_b32_e64 v6, 0, 1, vcc_lo
	v_cmp_gt_i32_e32 vcc_lo, 1, v7
	s_delay_alu instid0(VALU_DEP_2) | instskip(NEXT) | instid1(VALU_DEP_4)
	v_or_b32_e32 v6, v15, v6
	v_cndmask_b32_e32 v8, v10, v8, vcc_lo
	v_cmp_gt_i32_e32 vcc_lo, 1, v9
	s_delay_alu instid0(VALU_DEP_2) | instskip(NEXT) | instid1(VALU_DEP_4)
	v_and_b32_e32 v10, 7, v8
	v_cndmask_b32_e32 v6, v11, v6, vcc_lo
	v_cmp_ne_u32_e32 vcc_lo, 0, v2
	v_lshrrev_b32_e32 v8, 2, v8
	s_delay_alu instid0(VALU_DEP_4) | instskip(NEXT) | instid1(VALU_DEP_4)
	v_cmp_eq_u32_e64 s0, 3, v10
	v_and_b32_e32 v11, 7, v6
	v_cndmask_b32_e64 v2, 0, 1, vcc_lo
	v_cmp_ne_u32_e32 vcc_lo, 0, v4
	v_lshrrev_b32_e32 v6, 2, v6
	s_delay_alu instid0(VALU_DEP_4) | instskip(SKIP_4) | instid1(VALU_DEP_3)
	v_cmp_lt_i32_e64 s1, 5, v11
	v_cmp_eq_u32_e64 s2, 3, v11
	v_cndmask_b32_e64 v4, 0, 1, vcc_lo
	v_cmp_lt_i32_e32 vcc_lo, 5, v10
	v_lshl_or_b32 v2, v2, 9, 0x7c00
	v_lshl_or_b32 v4, v4, 9, 0x7c00
	s_or_b32 vcc_lo, s0, vcc_lo
	v_add_co_ci_u32_e32 v8, vcc_lo, 0, v8, vcc_lo
	s_or_b32 vcc_lo, s2, s1
	v_add_co_ci_u32_e32 v6, vcc_lo, 0, v6, vcc_lo
	v_cmp_gt_i32_e32 vcc_lo, 31, v7
	s_delay_alu instid0(VALU_DEP_3) | instskip(SKIP_1) | instid1(VALU_DEP_4)
	v_cndmask_b32_e32 v8, 0x7c00, v8, vcc_lo
	v_cmp_gt_i32_e32 vcc_lo, 31, v9
	v_cndmask_b32_e32 v6, 0x7c00, v6, vcc_lo
	v_cmp_eq_u32_e32 vcc_lo, 0x40f, v7
	s_delay_alu instid0(VALU_DEP_4) | instskip(SKIP_1) | instid1(VALU_DEP_2)
	v_cndmask_b32_e32 v2, v8, v2, vcc_lo
	v_cmp_eq_u32_e32 vcc_lo, 0x40f, v9
	v_and_or_b32 v2, 0x8000, v3, v2
	v_cndmask_b32_e32 v4, v6, v4, vcc_lo
	v_add_co_u32 v0, vcc_lo, v0, s14
	v_add_co_ci_u32_e32 v1, vcc_lo, s15, v1, vcc_lo
	s_delay_alu instid0(VALU_DEP_3) | instskip(SKIP_1) | instid1(VALU_DEP_1)
	v_and_or_b32 v3, 0x8000, v5, v4
	v_and_b32_e32 v2, 0xffff, v2
	v_lshl_or_b32 v2, v3, 16, v2
	global_store_b32 v[0:1], v2, off
	global_load_b32 v4, v[16:17], off offset:860
	ds_load_2addr_b32 v[2:3], v20 offset0:87 offset1:186
	s_waitcnt lgkmcnt(0)
	v_lshrrev_b32_e32 v5, 16, v2
	s_waitcnt vmcnt(0)
	v_lshrrev_b32_e32 v6, 16, v4
	s_delay_alu instid0(VALU_DEP_1) | instskip(SKIP_1) | instid1(VALU_DEP_2)
	v_mul_f16_e32 v7, v5, v6
	v_mul_f16_e32 v6, v2, v6
	v_fmac_f16_e32 v7, v2, v4
	s_delay_alu instid0(VALU_DEP_2) | instskip(NEXT) | instid1(VALU_DEP_2)
	v_fma_f16 v2, v4, v5, -v6
	v_cvt_f32_f16_e32 v4, v7
	s_delay_alu instid0(VALU_DEP_2) | instskip(NEXT) | instid1(VALU_DEP_2)
	v_cvt_f32_f16_e32 v2, v2
	v_cvt_f64_f32_e32 v[4:5], v4
	s_delay_alu instid0(VALU_DEP_2) | instskip(NEXT) | instid1(VALU_DEP_2)
	v_cvt_f64_f32_e32 v[6:7], v2
	v_mul_f64 v[4:5], v[4:5], s[10:11]
	s_delay_alu instid0(VALU_DEP_2) | instskip(NEXT) | instid1(VALU_DEP_2)
	v_mul_f64 v[6:7], v[6:7], s[10:11]
	v_and_or_b32 v2, 0x1ff, v5, v4
	s_delay_alu instid0(VALU_DEP_2)
	v_and_or_b32 v6, 0x1ff, v7, v6
	v_lshrrev_b32_e32 v4, 8, v5
	v_bfe_u32 v8, v5, 20, 11
	v_lshrrev_b32_e32 v9, 8, v7
	v_cmp_ne_u32_e32 vcc_lo, 0, v2
	v_bfe_u32 v10, v7, 20, 11
	v_lshrrev_b32_e32 v5, 16, v5
	v_sub_nc_u32_e32 v11, 0x3f1, v8
	v_add_nc_u32_e32 v8, 0xfffffc10, v8
	v_cndmask_b32_e64 v2, 0, 1, vcc_lo
	v_cmp_ne_u32_e32 vcc_lo, 0, v6
	v_lshrrev_b32_e32 v7, 16, v7
	s_delay_alu instid0(VALU_DEP_3) | instskip(SKIP_3) | instid1(VALU_DEP_3)
	v_and_or_b32 v2, 0xffe, v4, v2
	v_cndmask_b32_e64 v6, 0, 1, vcc_lo
	v_sub_nc_u32_e32 v4, 0x3f1, v10
	v_add_nc_u32_e32 v10, 0xfffffc10, v10
	v_and_or_b32 v6, 0xffe, v9, v6
	v_med3_i32 v9, v11, 0, 13
	v_or_b32_e32 v11, 0x1000, v2
	v_med3_i32 v4, v4, 0, 13
	s_delay_alu instid0(VALU_DEP_4) | instskip(NEXT) | instid1(VALU_DEP_3)
	v_or_b32_e32 v12, 0x1000, v6
	v_lshrrev_b32_e32 v15, v9, v11
	s_delay_alu instid0(VALU_DEP_2) | instskip(NEXT) | instid1(VALU_DEP_2)
	v_lshrrev_b32_e32 v18, v4, v12
	v_lshlrev_b32_e32 v9, v9, v15
	s_delay_alu instid0(VALU_DEP_2) | instskip(NEXT) | instid1(VALU_DEP_2)
	v_lshlrev_b32_e32 v4, v4, v18
	v_cmp_ne_u32_e32 vcc_lo, v9, v11
	v_lshl_or_b32 v11, v8, 12, v2
	v_cndmask_b32_e64 v9, 0, 1, vcc_lo
	s_delay_alu instid0(VALU_DEP_4) | instskip(SKIP_1) | instid1(VALU_DEP_3)
	v_cmp_ne_u32_e32 vcc_lo, v4, v12
	v_lshl_or_b32 v12, v10, 12, v6
	v_or_b32_e32 v9, v15, v9
	v_cndmask_b32_e64 v4, 0, 1, vcc_lo
	v_cmp_gt_i32_e32 vcc_lo, 1, v8
	s_delay_alu instid0(VALU_DEP_2) | instskip(NEXT) | instid1(VALU_DEP_4)
	v_or_b32_e32 v4, v18, v4
	v_cndmask_b32_e32 v9, v11, v9, vcc_lo
	v_cmp_gt_i32_e32 vcc_lo, 1, v10
	s_delay_alu instid0(VALU_DEP_2) | instskip(SKIP_2) | instid1(VALU_DEP_3)
	v_dual_cndmask_b32 v4, v12, v4 :: v_dual_and_b32 v11, 7, v9
	v_cmp_ne_u32_e32 vcc_lo, 0, v2
	v_lshrrev_b32_e32 v9, 2, v9
	v_cmp_eq_u32_e64 s0, 3, v11
	s_delay_alu instid0(VALU_DEP_4) | instskip(SKIP_3) | instid1(VALU_DEP_4)
	v_and_b32_e32 v12, 7, v4
	v_cndmask_b32_e64 v2, 0, 1, vcc_lo
	v_cmp_ne_u32_e32 vcc_lo, 0, v6
	v_lshrrev_b32_e32 v4, 2, v4
	v_cmp_lt_i32_e64 s1, 5, v12
	v_cmp_eq_u32_e64 s2, 3, v12
	v_cndmask_b32_e64 v6, 0, 1, vcc_lo
	v_cmp_lt_i32_e32 vcc_lo, 5, v11
	v_lshl_or_b32 v2, v2, 9, 0x7c00
	s_delay_alu instid0(VALU_DEP_3)
	v_lshl_or_b32 v6, v6, 9, 0x7c00
	s_or_b32 vcc_lo, s0, vcc_lo
	v_add_co_ci_u32_e32 v9, vcc_lo, 0, v9, vcc_lo
	s_or_b32 vcc_lo, s2, s1
	v_add_co_ci_u32_e32 v4, vcc_lo, 0, v4, vcc_lo
	v_cmp_gt_i32_e32 vcc_lo, 31, v8
	s_delay_alu instid0(VALU_DEP_3) | instskip(SKIP_1) | instid1(VALU_DEP_4)
	v_cndmask_b32_e32 v9, 0x7c00, v9, vcc_lo
	v_cmp_gt_i32_e32 vcc_lo, 31, v10
	v_cndmask_b32_e32 v4, 0x7c00, v4, vcc_lo
	v_cmp_eq_u32_e32 vcc_lo, 0x40f, v8
	s_delay_alu instid0(VALU_DEP_4) | instskip(SKIP_1) | instid1(VALU_DEP_2)
	v_cndmask_b32_e32 v2, v9, v2, vcc_lo
	v_cmp_eq_u32_e32 vcc_lo, 0x40f, v10
	v_and_or_b32 v2, 0x8000, v5, v2
	v_cndmask_b32_e32 v4, v4, v6, vcc_lo
	v_add_co_u32 v0, vcc_lo, v0, s14
	v_add_co_ci_u32_e32 v1, vcc_lo, s15, v1, vcc_lo
	s_delay_alu instid0(VALU_DEP_3) | instskip(SKIP_1) | instid1(VALU_DEP_1)
	v_and_or_b32 v4, 0x8000, v7, v4
	v_and_b32_e32 v2, 0xffff, v2
	v_lshl_or_b32 v2, v4, 16, v2
	v_lshrrev_b32_e32 v4, 16, v3
	global_store_b32 v[0:1], v2, off
	global_load_b32 v2, v[16:17], off offset:1256
	s_waitcnt vmcnt(0)
	v_lshrrev_b32_e32 v5, 16, v2
	s_delay_alu instid0(VALU_DEP_1) | instskip(SKIP_1) | instid1(VALU_DEP_2)
	v_mul_f16_e32 v6, v4, v5
	v_mul_f16_e32 v5, v3, v5
	v_fmac_f16_e32 v6, v3, v2
	s_delay_alu instid0(VALU_DEP_2) | instskip(NEXT) | instid1(VALU_DEP_2)
	v_fma_f16 v2, v2, v4, -v5
	v_cvt_f32_f16_e32 v3, v6
	s_delay_alu instid0(VALU_DEP_2) | instskip(NEXT) | instid1(VALU_DEP_2)
	v_cvt_f32_f16_e32 v4, v2
	v_cvt_f64_f32_e32 v[2:3], v3
	s_delay_alu instid0(VALU_DEP_2) | instskip(NEXT) | instid1(VALU_DEP_2)
	v_cvt_f64_f32_e32 v[4:5], v4
	v_mul_f64 v[2:3], v[2:3], s[10:11]
	s_delay_alu instid0(VALU_DEP_2) | instskip(NEXT) | instid1(VALU_DEP_2)
	v_mul_f64 v[4:5], v[4:5], s[10:11]
	v_and_or_b32 v2, 0x1ff, v3, v2
	s_delay_alu instid0(VALU_DEP_2)
	v_and_or_b32 v4, 0x1ff, v5, v4
	v_lshrrev_b32_e32 v6, 8, v3
	v_bfe_u32 v7, v3, 20, 11
	v_lshrrev_b32_e32 v8, 8, v5
	v_cmp_ne_u32_e32 vcc_lo, 0, v2
	v_bfe_u32 v9, v5, 20, 11
	v_lshrrev_b32_e32 v3, 16, v3
	v_sub_nc_u32_e32 v10, 0x3f1, v7
	v_add_nc_u32_e32 v7, 0xfffffc10, v7
	v_cndmask_b32_e64 v2, 0, 1, vcc_lo
	v_cmp_ne_u32_e32 vcc_lo, 0, v4
	v_lshrrev_b32_e32 v5, 16, v5
	s_delay_alu instid0(VALU_DEP_3) | instskip(SKIP_3) | instid1(VALU_DEP_3)
	v_and_or_b32 v2, 0xffe, v6, v2
	v_cndmask_b32_e64 v4, 0, 1, vcc_lo
	v_sub_nc_u32_e32 v6, 0x3f1, v9
	v_add_nc_u32_e32 v9, 0xfffffc10, v9
	v_and_or_b32 v4, 0xffe, v8, v4
	v_med3_i32 v8, v10, 0, 13
	v_or_b32_e32 v10, 0x1000, v2
	v_med3_i32 v6, v6, 0, 13
	s_delay_alu instid0(VALU_DEP_4) | instskip(NEXT) | instid1(VALU_DEP_3)
	v_or_b32_e32 v11, 0x1000, v4
	v_lshrrev_b32_e32 v12, v8, v10
	s_delay_alu instid0(VALU_DEP_2) | instskip(NEXT) | instid1(VALU_DEP_2)
	v_lshrrev_b32_e32 v15, v6, v11
	v_lshlrev_b32_e32 v8, v8, v12
	s_delay_alu instid0(VALU_DEP_2) | instskip(NEXT) | instid1(VALU_DEP_2)
	v_lshlrev_b32_e32 v6, v6, v15
	v_cmp_ne_u32_e32 vcc_lo, v8, v10
	v_lshl_or_b32 v10, v7, 12, v2
	v_cndmask_b32_e64 v8, 0, 1, vcc_lo
	s_delay_alu instid0(VALU_DEP_4) | instskip(SKIP_1) | instid1(VALU_DEP_3)
	v_cmp_ne_u32_e32 vcc_lo, v6, v11
	v_lshl_or_b32 v11, v9, 12, v4
	v_or_b32_e32 v8, v12, v8
	v_cndmask_b32_e64 v6, 0, 1, vcc_lo
	v_cmp_gt_i32_e32 vcc_lo, 1, v7
	s_delay_alu instid0(VALU_DEP_2) | instskip(NEXT) | instid1(VALU_DEP_4)
	v_or_b32_e32 v6, v15, v6
	v_cndmask_b32_e32 v8, v10, v8, vcc_lo
	v_cmp_gt_i32_e32 vcc_lo, 1, v9
	s_delay_alu instid0(VALU_DEP_2) | instskip(NEXT) | instid1(VALU_DEP_4)
	v_and_b32_e32 v10, 7, v8
	v_cndmask_b32_e32 v6, v11, v6, vcc_lo
	v_cmp_ne_u32_e32 vcc_lo, 0, v2
	v_lshrrev_b32_e32 v8, 2, v8
	s_delay_alu instid0(VALU_DEP_4) | instskip(NEXT) | instid1(VALU_DEP_4)
	v_cmp_eq_u32_e64 s0, 3, v10
	v_and_b32_e32 v11, 7, v6
	v_cndmask_b32_e64 v2, 0, 1, vcc_lo
	v_cmp_ne_u32_e32 vcc_lo, 0, v4
	v_lshrrev_b32_e32 v6, 2, v6
	s_delay_alu instid0(VALU_DEP_4) | instskip(SKIP_4) | instid1(VALU_DEP_3)
	v_cmp_lt_i32_e64 s1, 5, v11
	v_cmp_eq_u32_e64 s2, 3, v11
	v_cndmask_b32_e64 v4, 0, 1, vcc_lo
	v_cmp_lt_i32_e32 vcc_lo, 5, v10
	v_lshl_or_b32 v2, v2, 9, 0x7c00
	v_lshl_or_b32 v4, v4, 9, 0x7c00
	s_or_b32 vcc_lo, s0, vcc_lo
	v_add_co_ci_u32_e32 v8, vcc_lo, 0, v8, vcc_lo
	s_or_b32 vcc_lo, s2, s1
	v_add_co_ci_u32_e32 v6, vcc_lo, 0, v6, vcc_lo
	v_cmp_gt_i32_e32 vcc_lo, 31, v7
	s_delay_alu instid0(VALU_DEP_3) | instskip(SKIP_1) | instid1(VALU_DEP_4)
	v_cndmask_b32_e32 v8, 0x7c00, v8, vcc_lo
	v_cmp_gt_i32_e32 vcc_lo, 31, v9
	v_cndmask_b32_e32 v6, 0x7c00, v6, vcc_lo
	v_cmp_eq_u32_e32 vcc_lo, 0x40f, v7
	s_delay_alu instid0(VALU_DEP_4) | instskip(SKIP_1) | instid1(VALU_DEP_2)
	v_cndmask_b32_e32 v2, v8, v2, vcc_lo
	v_cmp_eq_u32_e32 vcc_lo, 0x40f, v9
	v_and_or_b32 v2, 0x8000, v3, v2
	v_cndmask_b32_e32 v4, v6, v4, vcc_lo
	v_add_co_u32 v0, vcc_lo, v0, s14
	v_add_co_ci_u32_e32 v1, vcc_lo, s15, v1, vcc_lo
	s_delay_alu instid0(VALU_DEP_3) | instskip(SKIP_1) | instid1(VALU_DEP_1)
	v_and_or_b32 v3, 0x8000, v5, v4
	v_and_b32_e32 v2, 0xffff, v2
	v_lshl_or_b32 v2, v3, 16, v2
	global_store_b32 v[0:1], v2, off
	global_load_b32 v4, v[16:17], off offset:1652
	ds_load_2addr_b32 v[2:3], v39 offset0:29 offset1:128
	s_waitcnt lgkmcnt(0)
	v_lshrrev_b32_e32 v5, 16, v2
	s_waitcnt vmcnt(0)
	v_lshrrev_b32_e32 v6, 16, v4
	s_delay_alu instid0(VALU_DEP_1) | instskip(SKIP_1) | instid1(VALU_DEP_2)
	v_mul_f16_e32 v7, v5, v6
	v_mul_f16_e32 v6, v2, v6
	v_fmac_f16_e32 v7, v2, v4
	s_delay_alu instid0(VALU_DEP_2) | instskip(NEXT) | instid1(VALU_DEP_2)
	v_fma_f16 v2, v4, v5, -v6
	v_cvt_f32_f16_e32 v4, v7
	s_delay_alu instid0(VALU_DEP_2) | instskip(NEXT) | instid1(VALU_DEP_2)
	v_cvt_f32_f16_e32 v2, v2
	v_cvt_f64_f32_e32 v[4:5], v4
	s_delay_alu instid0(VALU_DEP_2) | instskip(NEXT) | instid1(VALU_DEP_2)
	v_cvt_f64_f32_e32 v[6:7], v2
	v_mul_f64 v[4:5], v[4:5], s[10:11]
	s_delay_alu instid0(VALU_DEP_2) | instskip(NEXT) | instid1(VALU_DEP_2)
	v_mul_f64 v[6:7], v[6:7], s[10:11]
	v_and_or_b32 v2, 0x1ff, v5, v4
	s_delay_alu instid0(VALU_DEP_2)
	v_and_or_b32 v6, 0x1ff, v7, v6
	v_lshrrev_b32_e32 v4, 8, v5
	v_bfe_u32 v8, v5, 20, 11
	v_lshrrev_b32_e32 v9, 8, v7
	v_cmp_ne_u32_e32 vcc_lo, 0, v2
	v_bfe_u32 v10, v7, 20, 11
	v_lshrrev_b32_e32 v5, 16, v5
	v_sub_nc_u32_e32 v11, 0x3f1, v8
	v_add_nc_u32_e32 v8, 0xfffffc10, v8
	v_cndmask_b32_e64 v2, 0, 1, vcc_lo
	v_cmp_ne_u32_e32 vcc_lo, 0, v6
	v_lshrrev_b32_e32 v7, 16, v7
	s_delay_alu instid0(VALU_DEP_3) | instskip(SKIP_3) | instid1(VALU_DEP_3)
	v_and_or_b32 v2, 0xffe, v4, v2
	v_cndmask_b32_e64 v6, 0, 1, vcc_lo
	v_sub_nc_u32_e32 v4, 0x3f1, v10
	v_add_nc_u32_e32 v10, 0xfffffc10, v10
	v_and_or_b32 v6, 0xffe, v9, v6
	v_med3_i32 v9, v11, 0, 13
	v_or_b32_e32 v11, 0x1000, v2
	v_med3_i32 v4, v4, 0, 13
	s_delay_alu instid0(VALU_DEP_4) | instskip(NEXT) | instid1(VALU_DEP_3)
	v_or_b32_e32 v12, 0x1000, v6
	v_lshrrev_b32_e32 v15, v9, v11
	s_delay_alu instid0(VALU_DEP_2) | instskip(NEXT) | instid1(VALU_DEP_2)
	v_lshrrev_b32_e32 v18, v4, v12
	v_lshlrev_b32_e32 v9, v9, v15
	s_delay_alu instid0(VALU_DEP_2) | instskip(NEXT) | instid1(VALU_DEP_2)
	v_lshlrev_b32_e32 v4, v4, v18
	v_cmp_ne_u32_e32 vcc_lo, v9, v11
	v_lshl_or_b32 v11, v8, 12, v2
	v_cndmask_b32_e64 v9, 0, 1, vcc_lo
	s_delay_alu instid0(VALU_DEP_4) | instskip(SKIP_1) | instid1(VALU_DEP_3)
	v_cmp_ne_u32_e32 vcc_lo, v4, v12
	v_lshl_or_b32 v12, v10, 12, v6
	v_or_b32_e32 v9, v15, v9
	v_cndmask_b32_e64 v4, 0, 1, vcc_lo
	v_cmp_gt_i32_e32 vcc_lo, 1, v8
	s_delay_alu instid0(VALU_DEP_2) | instskip(NEXT) | instid1(VALU_DEP_4)
	v_or_b32_e32 v4, v18, v4
	v_cndmask_b32_e32 v9, v11, v9, vcc_lo
	v_cmp_gt_i32_e32 vcc_lo, 1, v10
	s_delay_alu instid0(VALU_DEP_2) | instskip(SKIP_2) | instid1(VALU_DEP_3)
	v_dual_cndmask_b32 v4, v12, v4 :: v_dual_and_b32 v11, 7, v9
	v_cmp_ne_u32_e32 vcc_lo, 0, v2
	v_lshrrev_b32_e32 v9, 2, v9
	v_cmp_eq_u32_e64 s0, 3, v11
	s_delay_alu instid0(VALU_DEP_4) | instskip(SKIP_3) | instid1(VALU_DEP_4)
	v_and_b32_e32 v12, 7, v4
	v_cndmask_b32_e64 v2, 0, 1, vcc_lo
	v_cmp_ne_u32_e32 vcc_lo, 0, v6
	v_lshrrev_b32_e32 v4, 2, v4
	v_cmp_lt_i32_e64 s1, 5, v12
	v_cmp_eq_u32_e64 s2, 3, v12
	v_cndmask_b32_e64 v6, 0, 1, vcc_lo
	v_cmp_lt_i32_e32 vcc_lo, 5, v11
	v_lshl_or_b32 v2, v2, 9, 0x7c00
	s_delay_alu instid0(VALU_DEP_3)
	v_lshl_or_b32 v6, v6, 9, 0x7c00
	s_or_b32 vcc_lo, s0, vcc_lo
	v_add_co_ci_u32_e32 v9, vcc_lo, 0, v9, vcc_lo
	s_or_b32 vcc_lo, s2, s1
	v_add_co_ci_u32_e32 v4, vcc_lo, 0, v4, vcc_lo
	v_cmp_gt_i32_e32 vcc_lo, 31, v8
	s_delay_alu instid0(VALU_DEP_3) | instskip(SKIP_1) | instid1(VALU_DEP_4)
	v_cndmask_b32_e32 v9, 0x7c00, v9, vcc_lo
	v_cmp_gt_i32_e32 vcc_lo, 31, v10
	v_cndmask_b32_e32 v4, 0x7c00, v4, vcc_lo
	v_cmp_eq_u32_e32 vcc_lo, 0x40f, v8
	s_delay_alu instid0(VALU_DEP_4) | instskip(SKIP_1) | instid1(VALU_DEP_2)
	v_cndmask_b32_e32 v2, v9, v2, vcc_lo
	v_cmp_eq_u32_e32 vcc_lo, 0x40f, v10
	v_and_or_b32 v2, 0x8000, v5, v2
	v_cndmask_b32_e32 v4, v4, v6, vcc_lo
	v_add_co_u32 v0, vcc_lo, v0, s14
	v_add_co_ci_u32_e32 v1, vcc_lo, s15, v1, vcc_lo
	s_delay_alu instid0(VALU_DEP_3) | instskip(SKIP_1) | instid1(VALU_DEP_1)
	v_and_or_b32 v4, 0x8000, v7, v4
	v_and_b32_e32 v2, 0xffff, v2
	v_lshl_or_b32 v2, v4, 16, v2
	v_lshlrev_b32_e32 v4, 2, v21
	global_store_b32 v[0:1], v2, off
	global_load_b32 v2, v4, s[12:13]
	v_lshrrev_b32_e32 v4, 16, v3
	s_waitcnt vmcnt(0)
	v_lshrrev_b32_e32 v5, 16, v2
	s_delay_alu instid0(VALU_DEP_1) | instskip(SKIP_1) | instid1(VALU_DEP_2)
	v_mul_f16_e32 v6, v4, v5
	v_mul_f16_e32 v5, v3, v5
	v_fmac_f16_e32 v6, v3, v2
	s_delay_alu instid0(VALU_DEP_2) | instskip(NEXT) | instid1(VALU_DEP_2)
	v_fma_f16 v2, v2, v4, -v5
	v_cvt_f32_f16_e32 v3, v6
	s_delay_alu instid0(VALU_DEP_2) | instskip(NEXT) | instid1(VALU_DEP_2)
	v_cvt_f32_f16_e32 v4, v2
	v_cvt_f64_f32_e32 v[2:3], v3
	s_delay_alu instid0(VALU_DEP_2) | instskip(NEXT) | instid1(VALU_DEP_2)
	v_cvt_f64_f32_e32 v[4:5], v4
	v_mul_f64 v[2:3], v[2:3], s[10:11]
	s_delay_alu instid0(VALU_DEP_2) | instskip(NEXT) | instid1(VALU_DEP_2)
	v_mul_f64 v[4:5], v[4:5], s[10:11]
	v_and_or_b32 v2, 0x1ff, v3, v2
	s_delay_alu instid0(VALU_DEP_2)
	v_and_or_b32 v4, 0x1ff, v5, v4
	v_lshrrev_b32_e32 v6, 8, v3
	v_bfe_u32 v8, v3, 20, 11
	v_bfe_u32 v9, v5, 20, 11
	v_cmp_ne_u32_e32 vcc_lo, 0, v2
	v_lshrrev_b32_e32 v7, 8, v5
	v_lshrrev_b32_e32 v5, 16, v5
	v_sub_nc_u32_e32 v10, 0x3f1, v8
	v_sub_nc_u32_e32 v11, 0x3f1, v9
	v_cndmask_b32_e64 v2, 0, 1, vcc_lo
	v_cmp_ne_u32_e32 vcc_lo, 0, v4
	v_add_nc_u32_e32 v9, 0xfffffc10, v9
	s_delay_alu instid0(VALU_DEP_3) | instskip(SKIP_3) | instid1(VALU_DEP_4)
	v_and_or_b32 v12, 0xffe, v6, v2
	v_cndmask_b32_e64 v4, 0, 1, vcc_lo
	v_med3_i32 v2, v10, 0, 13
	v_med3_i32 v10, v11, 0, 13
	v_or_b32_e32 v11, 0x1000, v12
	s_delay_alu instid0(VALU_DEP_4) | instskip(SKIP_1) | instid1(VALU_DEP_3)
	v_and_or_b32 v4, 0xffe, v7, v4
	v_mad_u64_u32 v[6:7], null, s8, v21, 0
	v_lshrrev_b32_e32 v18, v2, v11
	s_delay_alu instid0(VALU_DEP_3) | instskip(NEXT) | instid1(VALU_DEP_2)
	v_or_b32_e32 v15, 0x1000, v4
	v_lshlrev_b32_e32 v20, v2, v18
	s_delay_alu instid0(VALU_DEP_2) | instskip(SKIP_1) | instid1(VALU_DEP_3)
	v_lshrrev_b32_e32 v19, v10, v15
	v_mov_b32_e32 v2, v7
	v_cmp_ne_u32_e32 vcc_lo, v20, v11
	s_delay_alu instid0(VALU_DEP_3) | instskip(SKIP_2) | instid1(VALU_DEP_3)
	v_lshlrev_b32_e32 v7, v10, v19
	v_add_nc_u32_e32 v10, 0xfffffc10, v8
	v_cndmask_b32_e64 v11, 0, 1, vcc_lo
	v_cmp_ne_u32_e32 vcc_lo, v7, v15
	v_mad_u64_u32 v[7:8], null, s9, v21, v[2:3]
	s_delay_alu instid0(VALU_DEP_4) | instskip(NEXT) | instid1(VALU_DEP_4)
	v_lshl_or_b32 v2, v10, 12, v12
	v_or_b32_e32 v8, v18, v11
	v_cndmask_b32_e64 v15, 0, 1, vcc_lo
	v_cmp_gt_i32_e32 vcc_lo, 1, v10
	v_lshl_or_b32 v11, v9, 12, v4
	v_lshrrev_b32_e32 v3, 16, v3
	s_delay_alu instid0(VALU_DEP_4) | instskip(SKIP_2) | instid1(VALU_DEP_3)
	v_or_b32_e32 v15, v19, v15
	v_cndmask_b32_e32 v2, v2, v8, vcc_lo
	v_cmp_gt_i32_e32 vcc_lo, 1, v9
	v_cndmask_b32_e32 v8, v11, v15, vcc_lo
	v_cmp_ne_u32_e32 vcc_lo, 0, v12
	s_delay_alu instid0(VALU_DEP_4) | instskip(SKIP_1) | instid1(VALU_DEP_4)
	v_and_b32_e32 v12, 7, v2
	v_lshrrev_b32_e32 v2, 2, v2
	v_and_b32_e32 v15, 7, v8
	v_cndmask_b32_e64 v11, 0, 1, vcc_lo
	v_cmp_ne_u32_e32 vcc_lo, 0, v4
	v_cmp_eq_u32_e64 s0, 3, v12
	v_lshrrev_b32_e32 v8, 2, v8
	v_cmp_lt_i32_e64 s1, 5, v15
	v_cmp_eq_u32_e64 s2, 3, v15
	v_cndmask_b32_e64 v4, 0, 1, vcc_lo
	v_cmp_lt_i32_e32 vcc_lo, 5, v12
	v_lshl_or_b32 v11, v11, 9, 0x7c00
	s_delay_alu instid0(VALU_DEP_3)
	v_lshl_or_b32 v4, v4, 9, 0x7c00
	s_or_b32 vcc_lo, s0, vcc_lo
	v_add_co_ci_u32_e32 v2, vcc_lo, 0, v2, vcc_lo
	s_or_b32 vcc_lo, s2, s1
	v_add_co_ci_u32_e32 v8, vcc_lo, 0, v8, vcc_lo
	v_cmp_gt_i32_e32 vcc_lo, 31, v10
	s_delay_alu instid0(VALU_DEP_3) | instskip(SKIP_1) | instid1(VALU_DEP_4)
	v_cndmask_b32_e32 v2, 0x7c00, v2, vcc_lo
	v_cmp_gt_i32_e32 vcc_lo, 31, v9
	v_cndmask_b32_e32 v8, 0x7c00, v8, vcc_lo
	v_cmp_eq_u32_e32 vcc_lo, 0x40f, v10
	s_delay_alu instid0(VALU_DEP_4) | instskip(SKIP_1) | instid1(VALU_DEP_4)
	v_cndmask_b32_e32 v2, v2, v11, vcc_lo
	v_cmp_eq_u32_e32 vcc_lo, 0x40f, v9
	v_cndmask_b32_e32 v4, v8, v4, vcc_lo
	s_delay_alu instid0(VALU_DEP_3) | instskip(SKIP_1) | instid1(VALU_DEP_3)
	v_and_or_b32 v8, 0x8000, v3, v2
	v_lshlrev_b64 v[2:3], 2, v[6:7]
	v_and_or_b32 v4, 0x8000, v5, v4
	s_delay_alu instid0(VALU_DEP_3) | instskip(NEXT) | instid1(VALU_DEP_3)
	v_and_b32_e32 v5, 0xffff, v8
	v_add_co_u32 v2, vcc_lo, v13, v2
	s_delay_alu instid0(VALU_DEP_4) | instskip(NEXT) | instid1(VALU_DEP_3)
	v_add_co_ci_u32_e32 v3, vcc_lo, v14, v3, vcc_lo
	v_lshl_or_b32 v4, v4, 16, v5
	global_store_b32 v[2:3], v4, off
	global_load_b32 v2, v[16:17], off offset:2444
	ds_load_b32 v3, v207 offset:6540
	s_waitcnt lgkmcnt(0)
	v_lshrrev_b32_e32 v4, 16, v3
	s_waitcnt vmcnt(0)
	v_lshrrev_b32_e32 v5, 16, v2
	s_delay_alu instid0(VALU_DEP_1) | instskip(SKIP_1) | instid1(VALU_DEP_2)
	v_mul_f16_e32 v6, v4, v5
	v_mul_f16_e32 v5, v3, v5
	v_fmac_f16_e32 v6, v3, v2
	s_delay_alu instid0(VALU_DEP_2) | instskip(NEXT) | instid1(VALU_DEP_2)
	v_fma_f16 v2, v2, v4, -v5
	v_cvt_f32_f16_e32 v3, v6
	s_delay_alu instid0(VALU_DEP_2) | instskip(NEXT) | instid1(VALU_DEP_2)
	v_cvt_f32_f16_e32 v4, v2
	v_cvt_f64_f32_e32 v[2:3], v3
	s_delay_alu instid0(VALU_DEP_2) | instskip(NEXT) | instid1(VALU_DEP_2)
	v_cvt_f64_f32_e32 v[4:5], v4
	v_mul_f64 v[2:3], v[2:3], s[10:11]
	s_delay_alu instid0(VALU_DEP_2) | instskip(NEXT) | instid1(VALU_DEP_2)
	v_mul_f64 v[4:5], v[4:5], s[10:11]
	v_and_or_b32 v2, 0x1ff, v3, v2
	s_delay_alu instid0(VALU_DEP_2)
	v_and_or_b32 v4, 0x1ff, v5, v4
	v_lshrrev_b32_e32 v6, 8, v3
	v_bfe_u32 v7, v3, 20, 11
	v_lshrrev_b32_e32 v8, 8, v5
	v_cmp_ne_u32_e32 vcc_lo, 0, v2
	v_bfe_u32 v9, v5, 20, 11
	v_lshrrev_b32_e32 v3, 16, v3
	v_sub_nc_u32_e32 v10, 0x3f1, v7
	v_add_nc_u32_e32 v14, 0xfffffc10, v7
	v_cndmask_b32_e64 v2, 0, 1, vcc_lo
	v_cmp_ne_u32_e32 vcc_lo, 0, v4
	v_lshrrev_b32_e32 v5, 16, v5
	s_delay_alu instid0(VALU_DEP_3) | instskip(SKIP_3) | instid1(VALU_DEP_3)
	v_and_or_b32 v2, 0xffe, v6, v2
	v_cndmask_b32_e64 v4, 0, 1, vcc_lo
	v_sub_nc_u32_e32 v6, 0x3f1, v9
	v_add_nc_u32_e32 v9, 0xfffffc10, v9
	v_and_or_b32 v4, 0xffe, v8, v4
	v_med3_i32 v8, v10, 0, 13
	v_or_b32_e32 v10, 0x1000, v2
	v_med3_i32 v6, v6, 0, 13
	s_delay_alu instid0(VALU_DEP_4) | instskip(NEXT) | instid1(VALU_DEP_3)
	v_or_b32_e32 v11, 0x1000, v4
	v_lshrrev_b32_e32 v12, v8, v10
	s_delay_alu instid0(VALU_DEP_2) | instskip(NEXT) | instid1(VALU_DEP_2)
	v_lshrrev_b32_e32 v13, v6, v11
	v_lshlrev_b32_e32 v8, v8, v12
	s_delay_alu instid0(VALU_DEP_2) | instskip(NEXT) | instid1(VALU_DEP_2)
	v_lshlrev_b32_e32 v6, v6, v13
	v_cmp_ne_u32_e32 vcc_lo, v8, v10
	v_cndmask_b32_e64 v8, 0, 1, vcc_lo
	s_delay_alu instid0(VALU_DEP_3) | instskip(SKIP_2) | instid1(VALU_DEP_4)
	v_cmp_ne_u32_e32 vcc_lo, v6, v11
	v_mad_u64_u32 v[6:7], null, 0x318, s8, v[0:1]
	v_lshl_or_b32 v0, v14, 12, v2
	v_or_b32_e32 v1, v12, v8
	v_cndmask_b32_e64 v10, 0, 1, vcc_lo
	v_cmp_gt_i32_e32 vcc_lo, 1, v14
	v_lshl_or_b32 v8, v9, 12, v4
	s_delay_alu instid0(VALU_DEP_3) | instskip(SKIP_2) | instid1(VALU_DEP_3)
	v_or_b32_e32 v10, v13, v10
	v_cndmask_b32_e32 v0, v0, v1, vcc_lo
	v_cmp_gt_i32_e32 vcc_lo, 1, v9
	v_cndmask_b32_e32 v1, v8, v10, vcc_lo
	v_cmp_ne_u32_e32 vcc_lo, 0, v2
	s_delay_alu instid0(VALU_DEP_4) | instskip(SKIP_1) | instid1(VALU_DEP_4)
	v_and_b32_e32 v8, 7, v0
	v_lshrrev_b32_e32 v0, 2, v0
	v_and_b32_e32 v10, 7, v1
	v_cndmask_b32_e64 v2, 0, 1, vcc_lo
	v_cmp_ne_u32_e32 vcc_lo, 0, v4
	v_cmp_eq_u32_e64 s0, 3, v8
	v_lshrrev_b32_e32 v1, 2, v1
	v_cmp_lt_i32_e64 s1, 5, v10
	v_cmp_eq_u32_e64 s2, 3, v10
	v_cndmask_b32_e64 v4, 0, 1, vcc_lo
	v_cmp_lt_i32_e32 vcc_lo, 5, v8
	v_lshl_or_b32 v2, v2, 9, 0x7c00
	s_delay_alu instid0(VALU_DEP_3)
	v_lshl_or_b32 v4, v4, 9, 0x7c00
	s_or_b32 vcc_lo, s0, vcc_lo
	v_add_co_ci_u32_e32 v0, vcc_lo, 0, v0, vcc_lo
	s_or_b32 vcc_lo, s2, s1
	v_add_co_ci_u32_e32 v1, vcc_lo, 0, v1, vcc_lo
	v_cmp_gt_i32_e32 vcc_lo, 31, v14
	s_delay_alu instid0(VALU_DEP_3) | instskip(SKIP_1) | instid1(VALU_DEP_4)
	v_cndmask_b32_e32 v0, 0x7c00, v0, vcc_lo
	v_cmp_gt_i32_e32 vcc_lo, 31, v9
	v_cndmask_b32_e32 v1, 0x7c00, v1, vcc_lo
	v_cmp_eq_u32_e32 vcc_lo, 0x40f, v14
	s_delay_alu instid0(VALU_DEP_4) | instskip(SKIP_2) | instid1(VALU_DEP_3)
	v_cndmask_b32_e32 v2, v0, v2, vcc_lo
	v_cmp_eq_u32_e32 vcc_lo, 0x40f, v9
	v_mov_b32_e32 v0, v7
	v_and_or_b32 v3, 0x8000, v3, v2
	v_cndmask_b32_e32 v4, v1, v4, vcc_lo
	s_delay_alu instid0(VALU_DEP_3) | instskip(NEXT) | instid1(VALU_DEP_3)
	v_mad_u64_u32 v[1:2], null, 0x318, s9, v[0:1]
	v_and_b32_e32 v2, 0xffff, v3
	s_delay_alu instid0(VALU_DEP_3) | instskip(NEXT) | instid1(VALU_DEP_3)
	v_and_or_b32 v0, 0x8000, v5, v4
	v_mov_b32_e32 v7, v1
	s_delay_alu instid0(VALU_DEP_2)
	v_lshl_or_b32 v0, v0, 16, v2
	global_store_b32 v[6:7], v0, off
.LBB0_15:
	s_nop 0
	s_sendmsg sendmsg(MSG_DEALLOC_VGPRS)
	s_endpgm
	.section	.rodata,"a",@progbits
	.p2align	6, 0x0
	.amdhsa_kernel bluestein_single_back_len1683_dim1_half_op_CI_CI
		.amdhsa_group_segment_fixed_size 6732
		.amdhsa_private_segment_fixed_size 244
		.amdhsa_kernarg_size 104
		.amdhsa_user_sgpr_count 15
		.amdhsa_user_sgpr_dispatch_ptr 0
		.amdhsa_user_sgpr_queue_ptr 0
		.amdhsa_user_sgpr_kernarg_segment_ptr 1
		.amdhsa_user_sgpr_dispatch_id 0
		.amdhsa_user_sgpr_private_segment_size 0
		.amdhsa_wavefront_size32 1
		.amdhsa_uses_dynamic_stack 0
		.amdhsa_enable_private_segment 1
		.amdhsa_system_sgpr_workgroup_id_x 1
		.amdhsa_system_sgpr_workgroup_id_y 0
		.amdhsa_system_sgpr_workgroup_id_z 0
		.amdhsa_system_sgpr_workgroup_info 0
		.amdhsa_system_vgpr_workitem_id 0
		.amdhsa_next_free_vgpr 256
		.amdhsa_next_free_sgpr 20
		.amdhsa_reserve_vcc 1
		.amdhsa_float_round_mode_32 0
		.amdhsa_float_round_mode_16_64 0
		.amdhsa_float_denorm_mode_32 3
		.amdhsa_float_denorm_mode_16_64 3
		.amdhsa_dx10_clamp 1
		.amdhsa_ieee_mode 1
		.amdhsa_fp16_overflow 0
		.amdhsa_workgroup_processor_mode 1
		.amdhsa_memory_ordered 1
		.amdhsa_forward_progress 0
		.amdhsa_shared_vgpr_count 0
		.amdhsa_exception_fp_ieee_invalid_op 0
		.amdhsa_exception_fp_denorm_src 0
		.amdhsa_exception_fp_ieee_div_zero 0
		.amdhsa_exception_fp_ieee_overflow 0
		.amdhsa_exception_fp_ieee_underflow 0
		.amdhsa_exception_fp_ieee_inexact 0
		.amdhsa_exception_int_div_zero 0
	.end_amdhsa_kernel
	.text
.Lfunc_end0:
	.size	bluestein_single_back_len1683_dim1_half_op_CI_CI, .Lfunc_end0-bluestein_single_back_len1683_dim1_half_op_CI_CI
                                        ; -- End function
	.section	.AMDGPU.csdata,"",@progbits
; Kernel info:
; codeLenInByte = 87004
; NumSgprs: 22
; NumVgprs: 256
; ScratchSize: 244
; MemoryBound: 0
; FloatMode: 240
; IeeeMode: 1
; LDSByteSize: 6732 bytes/workgroup (compile time only)
; SGPRBlocks: 2
; VGPRBlocks: 31
; NumSGPRsForWavesPerEU: 22
; NumVGPRsForWavesPerEU: 256
; Occupancy: 5
; WaveLimiterHint : 1
; COMPUTE_PGM_RSRC2:SCRATCH_EN: 1
; COMPUTE_PGM_RSRC2:USER_SGPR: 15
; COMPUTE_PGM_RSRC2:TRAP_HANDLER: 0
; COMPUTE_PGM_RSRC2:TGID_X_EN: 1
; COMPUTE_PGM_RSRC2:TGID_Y_EN: 0
; COMPUTE_PGM_RSRC2:TGID_Z_EN: 0
; COMPUTE_PGM_RSRC2:TIDIG_COMP_CNT: 0
	.text
	.p2alignl 7, 3214868480
	.fill 96, 4, 3214868480
	.type	__hip_cuid_c669bcdb9a5139e0,@object ; @__hip_cuid_c669bcdb9a5139e0
	.section	.bss,"aw",@nobits
	.globl	__hip_cuid_c669bcdb9a5139e0
__hip_cuid_c669bcdb9a5139e0:
	.byte	0                               ; 0x0
	.size	__hip_cuid_c669bcdb9a5139e0, 1

	.ident	"AMD clang version 19.0.0git (https://github.com/RadeonOpenCompute/llvm-project roc-6.4.0 25133 c7fe45cf4b819c5991fe208aaa96edf142730f1d)"
	.section	".note.GNU-stack","",@progbits
	.addrsig
	.addrsig_sym __hip_cuid_c669bcdb9a5139e0
	.amdgpu_metadata
---
amdhsa.kernels:
  - .args:
      - .actual_access:  read_only
        .address_space:  global
        .offset:         0
        .size:           8
        .value_kind:     global_buffer
      - .actual_access:  read_only
        .address_space:  global
        .offset:         8
        .size:           8
        .value_kind:     global_buffer
      - .actual_access:  read_only
        .address_space:  global
        .offset:         16
        .size:           8
        .value_kind:     global_buffer
      - .actual_access:  read_only
        .address_space:  global
        .offset:         24
        .size:           8
        .value_kind:     global_buffer
      - .actual_access:  read_only
        .address_space:  global
        .offset:         32
        .size:           8
        .value_kind:     global_buffer
      - .offset:         40
        .size:           8
        .value_kind:     by_value
      - .address_space:  global
        .offset:         48
        .size:           8
        .value_kind:     global_buffer
      - .address_space:  global
        .offset:         56
        .size:           8
        .value_kind:     global_buffer
      - .address_space:  global
        .offset:         64
        .size:           8
        .value_kind:     global_buffer
      - .address_space:  global
        .offset:         72
        .size:           8
        .value_kind:     global_buffer
      - .offset:         80
        .size:           4
        .value_kind:     by_value
      - .address_space:  global
        .offset:         88
        .size:           8
        .value_kind:     global_buffer
      - .address_space:  global
        .offset:         96
        .size:           8
        .value_kind:     global_buffer
    .group_segment_fixed_size: 6732
    .kernarg_segment_align: 8
    .kernarg_segment_size: 104
    .language:       OpenCL C
    .language_version:
      - 2
      - 0
    .max_flat_workgroup_size: 51
    .name:           bluestein_single_back_len1683_dim1_half_op_CI_CI
    .private_segment_fixed_size: 244
    .sgpr_count:     22
    .sgpr_spill_count: 0
    .symbol:         bluestein_single_back_len1683_dim1_half_op_CI_CI.kd
    .uniform_work_group_size: 1
    .uses_dynamic_stack: false
    .vgpr_count:     256
    .vgpr_spill_count: 60
    .wavefront_size: 32
    .workgroup_processor_mode: 1
amdhsa.target:   amdgcn-amd-amdhsa--gfx1100
amdhsa.version:
  - 1
  - 2
...

	.end_amdgpu_metadata
